;; amdgpu-corpus repo=vllm-project/vllm kind=triton arch=gfx942 opt=O3 lang=triton
	.amdgcn_target "amdgcn-amd-amdhsa--gfx942"
	.amdhsa_code_object_version 5
	.text
	.globl	_w8a8_triton_block_scaled_mm    ; -- Begin function _w8a8_triton_block_scaled_mm
	.p2align	8
	.type	_w8a8_triton_block_scaled_mm,@function
_w8a8_triton_block_scaled_mm:           ; @_w8a8_triton_block_scaled_mm
.Lfunc_begin0:
	.cfi_sections .debug_frame
	.cfi_startproc
; %bb.323:
	.file	1 "/root/src/amdgpu-assembly/repos/vllm-project__vllm/triton_aot_kernels" "fp8_utils_aot.py"
	.loc	1 8 0 prologue_end              ; fp8_utils_aot.py:8:0
	s_load_dwordx2 s[2:3], s[0:1], 0x0
	s_load_dwordx8 s[4:11], s[0:1], 0x8
	s_load_dwordx4 s[12:15], s[0:1], 0x28
	s_waitcnt lgkmcnt(0)
	s_branch .LBB0_0
	.loc	1 0 0 is_stmt 0                 ; :0:0
.Ltmp0:
	.p2align	8
; %bb.324:
.LBB0_0:
                                        ; implicit-def: $vgpr254 : SGPR spill to VGPR lane
	s_mov_b64 s[58:59], s[0:1]
	v_writelane_b32 v254, s6, 0
.Ltmp1:
	.file	2 "/root/.local/lib/python3.13/site-packages/triton/language" "standard.py"
	.loc	2 43 17 is_stmt 1               ; standard.py:43:17 @[ fp8_utils_aot.py:45:27 ]
	s_add_i32 s1, s12, 63
.Ltmp2:
	.loc	1 48 22                         ; fp8_utils_aot.py:48:22
	s_abs_i32 s18, s16
	v_writelane_b32 v254, s7, 1
.Ltmp3:
	.loc	2 43 17                         ; standard.py:43:17 @[ fp8_utils_aot.py:46:27 ]
	s_add_i32 s6, s13, 0x7f
	.loc	2 43 30 is_stmt 0               ; standard.py:43:30 @[ fp8_utils_aot.py:46:27 ]
	s_ashr_i32 s7, s6, 31
	s_lshr_b32 s7, s7, 25
	s_add_i32 s6, s6, s7
	s_ashr_i32 s7, s6, 7
.Ltmp4:
	.loc	1 47 38 is_stmt 1               ; fp8_utils_aot.py:47:38
	s_lshl_b32 s23, s7, 3
	.loc	1 48 22                         ; fp8_utils_aot.py:48:22
	s_abs_i32 s7, s23
	v_cvt_f32_u32_e32 v1, s7
	s_sub_i32 s19, 0, s7
.Ltmp5:
	.loc	2 43 30                         ; standard.py:43:30 @[ fp8_utils_aot.py:45:27 ]
	s_ashr_i32 s17, s1, 31
	s_lshr_b32 s17, s17, 26
.Ltmp6:
	.loc	1 48 22                         ; fp8_utils_aot.py:48:22
	v_rcp_iflag_f32_e32 v1, v1
	.loc	1 67 20                         ; fp8_utils_aot.py:67:20
	v_readfirstlane_b32 s60, v0
.Ltmp7:
	.loc	2 43 30                         ; standard.py:43:30 @[ fp8_utils_aot.py:45:27 ]
	s_add_i32 s1, s1, s17
.Ltmp8:
	.loc	1 48 22                         ; fp8_utils_aot.py:48:22
	s_ashr_i32 s17, s16, 31
	v_mul_f32_e32 v1, 0x4f7ffffe, v1
	v_cvt_u32_f32_e32 v1, v1
	s_ashr_i32 s6, s6, 31
	.loc	1 89 21                         ; fp8_utils_aot.py:89:21
	s_and_b32 s0, s60, 0xc0
.Ltmp9:
	.loc	2 43 30                         ; standard.py:43:30 @[ fp8_utils_aot.py:45:27 ]
	s_ashr_i32 s1, s1, 6
.Ltmp10:
	.loc	1 48 22                         ; fp8_utils_aot.py:48:22
	v_readfirstlane_b32 s20, v1
	s_mul_i32 s19, s19, s20
	s_mul_hi_u32 s19, s20, s19
	s_add_i32 s20, s20, s19
	s_mul_hi_u32 s19, s18, s20
	s_mul_i32 s20, s19, s7
	s_sub_i32 s20, s18, s20
	s_xor_b32 s6, s17, s6
	s_add_i32 s21, s19, 1
	s_sub_i32 s22, s20, s7
	s_cmp_ge_u32 s20, s7
	s_cselect_b32 s19, s21, s19
	s_cselect_b32 s20, s22, s20
	s_add_i32 s21, s19, 1
	s_cmp_ge_u32 s20, s7
	s_cselect_b32 s7, s21, s19
	s_xor_b32 s7, s7, s6
	s_sub_i32 s6, s7, s6
	.loc	1 49 29                         ; fp8_utils_aot.py:49:29
	s_lshl_b32 s7, s6, 3
	.loc	1 50 35                         ; fp8_utils_aot.py:50:35
	s_sub_i32 s1, s1, s7
	.loc	1 50 48 is_stmt 0               ; fp8_utils_aot.py:50:48
	s_min_i32 s1, s1, 8
	.loc	1 51 33 is_stmt 1               ; fp8_utils_aot.py:51:33
	s_abs_i32 s19, s1
	v_cvt_f32_u32_e32 v1, s19
	s_sub_i32 s20, 0, s19
	.loc	1 52 19                         ; fp8_utils_aot.py:52:19
	s_mul_i32 s6, s6, s23
	.loc	1 54 51                         ; fp8_utils_aot.py:54:51
	v_and_b32_e32 v33, 31, v0
	.loc	1 51 33                         ; fp8_utils_aot.py:51:33
	v_rcp_iflag_f32_e32 v1, v1
	s_movk_i32 s33, 0x7f
	s_mov_b32 s98, 0
	v_writelane_b32 v254, s13, 2
	v_mul_f32_e32 v1, 0x4f7ffffe, v1
	v_cvt_u32_f32_e32 v1, v1
	v_mov_b32_e32 v85, 0
	v_mov_b32_e32 v84, 0
	;; [unrolled: 1-line block ×3, first 2 shown]
	v_readfirstlane_b32 s21, v1
	s_mul_i32 s20, s20, s21
	s_mul_hi_u32 s20, s21, s20
	s_add_i32 s21, s21, s20
	s_mul_hi_u32 s20, s18, s21
	s_mul_i32 s20, s20, s19
	s_sub_i32 s18, s18, s20
	s_sub_i32 s20, s18, s19
	s_cmp_ge_u32 s18, s19
	s_cselect_b32 s18, s20, s18
	s_sub_i32 s20, s18, s19
	s_cmp_ge_u32 s18, s19
	s_cselect_b32 s18, s20, s18
	.loc	1 52 19                         ; fp8_utils_aot.py:52:19
	s_sub_i32 s6, s16, s6
	.loc	1 51 33                         ; fp8_utils_aot.py:51:33
	s_xor_b32 s18, s18, s17
	.loc	1 52 40                         ; fp8_utils_aot.py:52:40
	s_xor_b32 s1, s6, s1
	.loc	1 51 33                         ; fp8_utils_aot.py:51:33
	s_sub_i32 s17, s18, s17
	.loc	1 52 40                         ; fp8_utils_aot.py:52:40
	s_ashr_i32 s18, s1, 31
	s_abs_i32 s1, s6
	s_mul_hi_u32 s6, s1, s21
	s_mul_i32 s16, s6, s19
	s_sub_i32 s1, s1, s16
	.loc	1 51 27                         ; fp8_utils_aot.py:51:27
	s_add_i32 s7, s7, s17
	.loc	1 52 40                         ; fp8_utils_aot.py:52:40
	s_add_i32 s16, s6, 1
	s_sub_i32 s17, s1, s19
	s_cmp_ge_u32 s1, s19
	s_cselect_b32 s6, s16, s6
	s_cselect_b32 s1, s17, s1
	s_add_i32 s16, s6, 1
	s_cmp_ge_u32 s1, s19
	s_cselect_b32 s6, s16, s6
	.loc	1 54 68                         ; fp8_utils_aot.py:54:68
	s_abs_i32 s1, s12
	v_cvt_f32_u32_e32 v1, s1
	.loc	1 52 40                         ; fp8_utils_aot.py:52:40
	s_xor_b32 s6, s6, s18
	s_sub_i32 s6, s6, s18
	.loc	1 55 51                         ; fp8_utils_aot.py:55:51
	s_lshr_b32 s16, s0, 1
	.loc	1 54 68                         ; fp8_utils_aot.py:54:68
	v_rcp_iflag_f32_e32 v1, v1
	.loc	1 55 23                         ; fp8_utils_aot.py:55:23
	s_lshl_b32 s56, s6, 7
	.loc	1 55 68 is_stmt 0               ; fp8_utils_aot.py:55:68
	s_abs_i32 s52, s13
	s_bfe_i32 s53, s6, 0x10018
	.loc	1 54 68 is_stmt 1               ; fp8_utils_aot.py:54:68
	v_mul_f32_e32 v1, 0x4f7ffffe, v1
	v_cvt_u32_f32_e32 v1, v1
	.loc	1 55 68                         ; fp8_utils_aot.py:55:68
	s_sub_i32 s6, 0, s52
	.loc	1 54 23                         ; fp8_utils_aot.py:54:23
	s_lshl_b32 s61, s7, 6
	v_mov_b32_e32 v82, 0
	.loc	1 54 68 is_stmt 0               ; fp8_utils_aot.py:54:68
	v_readfirstlane_b32 s57, v1
	.loc	1 55 51 is_stmt 1               ; fp8_utils_aot.py:55:51
	v_lshrrev_b32_e32 v1, 3, v0
	v_and_b32_e32 v1, 4, v1
	v_or_b32_e32 v2, s16, v1
	.loc	1 55 38 is_stmt 0               ; fp8_utils_aot.py:55:38
	v_or_b32_e32 v188, s56, v2
	.loc	1 55 68                         ; fp8_utils_aot.py:55:68
	v_cvt_f32_u32_e32 v2, s52
	v_add_u32_e32 v3, s53, v188
	v_xor_b32_e32 v3, s53, v3
	.loc	1 55 38                         ; fp8_utils_aot.py:55:38
	v_or_b32_e32 v5, 1, v188
	.loc	1 55 68                         ; fp8_utils_aot.py:55:68
	v_rcp_iflag_f32_e32 v2, v2
	v_accvgpr_write_b32 a15, v5
	.loc	1 55 38                         ; fp8_utils_aot.py:55:38
	v_or_b32_e32 v6, 2, v188
	v_accvgpr_write_b32 a14, v6
	.loc	1 55 68                         ; fp8_utils_aot.py:55:68
	v_mul_f32_e32 v2, 0x4f7ffffe, v2
	v_cvt_u32_f32_e32 v2, v2
	.loc	1 55 38                         ; fp8_utils_aot.py:55:38
	v_or_b32_e32 v7, 3, v188
	v_accvgpr_write_b32 a13, v7
	v_or_b32_e32 v8, 8, v188
	.loc	1 55 68                         ; fp8_utils_aot.py:55:68
	v_mul_lo_u32 v4, s6, v2
	v_mul_hi_u32 v4, v2, v4
	v_add_u32_e32 v2, v2, v4
	v_mul_hi_u32 v4, v3, v2
	v_mul_lo_u32 v4, v4, s52
	v_sub_u32_e32 v3, v3, v4
	v_subrev_u32_e32 v4, s52, v3
	v_cmp_le_u32_e32 vcc, s52, v3
	v_accvgpr_write_b32 a12, v8
	.loc	1 55 38                         ; fp8_utils_aot.py:55:38
	v_or_b32_e32 v9, 9, v188
	.loc	1 55 68                         ; fp8_utils_aot.py:55:68
	v_cndmask_b32_e32 v3, v3, v4, vcc
	v_add_u32_e32 v4, s53, v5
	v_xor_b32_e32 v4, s53, v4
	v_mul_hi_u32 v5, v4, v2
	v_mul_lo_u32 v5, v5, s52
	v_sub_u32_e32 v4, v4, v5
	v_subrev_u32_e32 v5, s52, v4
	v_cmp_le_u32_e64 s[16:17], s52, v4
	v_accvgpr_write_b32 a11, v9
	.loc	1 55 38                         ; fp8_utils_aot.py:55:38
	v_or_b32_e32 v13, 10, v188
	.loc	1 55 68                         ; fp8_utils_aot.py:55:68
	v_cndmask_b32_e64 v4, v4, v5, s[16:17]
	v_add_u32_e32 v5, s53, v6
	v_xor_b32_e32 v5, s53, v5
	v_mul_hi_u32 v6, v5, v2
	v_mul_lo_u32 v6, v6, s52
	v_sub_u32_e32 v5, v5, v6
	v_subrev_u32_e32 v6, s52, v5
	v_cmp_le_u32_e64 s[16:17], s52, v5
	.loc	1 55 38                         ; fp8_utils_aot.py:55:38
	v_or_b32_e32 v14, 11, v188
	v_accvgpr_write_b32 a10, v13
	.loc	1 55 68                         ; fp8_utils_aot.py:55:68
	v_cndmask_b32_e64 v5, v5, v6, s[16:17]
	v_add_u32_e32 v6, s53, v7
	v_xor_b32_e32 v6, s53, v6
	v_mul_hi_u32 v7, v6, v2
	v_mul_lo_u32 v7, v7, s52
	v_sub_u32_e32 v6, v6, v7
	v_subrev_u32_e32 v7, s52, v6
	v_cmp_le_u32_e64 s[16:17], s52, v6
	.loc	1 55 38                         ; fp8_utils_aot.py:55:38
	v_or_b32_e32 v15, 16, v188
	v_accvgpr_write_b32 a8, v14
	;; [unrolled: 12-line block ×8, first 2 shown]
	.loc	1 55 68                         ; fp8_utils_aot.py:55:68
	v_cndmask_b32_e64 v16, v8, v9, s[28:29]
	v_add_u32_e32 v8, s53, v17
	v_xor_b32_e32 v8, s53, v8
	v_mul_hi_u32 v9, v8, v2
	v_mul_lo_u32 v9, v9, s52
	v_sub_u32_e32 v8, v8, v9
	v_subrev_u32_e32 v9, s52, v8
	v_cmp_le_u32_e64 s[30:31], s52, v8
	.loc	1 55 38                         ; fp8_utils_aot.py:55:38
	v_or_b32_e32 v10, 27, v188
.Ltmp11:
	.loc	2 43 17 is_stmt 1               ; standard.py:43:17 @[ fp8_utils_aot.py:65:33 ]
	s_add_i32 s6, s14, 0x7f
.Ltmp12:
	.loc	1 55 68                         ; fp8_utils_aot.py:55:68
	v_cndmask_b32_e64 v17, v8, v9, s[30:31]
	v_add_u32_e32 v8, s53, v18
	v_xor_b32_e32 v8, s53, v8
	v_mul_hi_u32 v9, v8, v2
	v_mul_lo_u32 v9, v9, s52
	v_sub_u32_e32 v8, v8, v9
	v_subrev_u32_e32 v9, s52, v8
	v_cmp_le_u32_e64 s[34:35], s52, v8
	v_cmp_le_u32_e32 vcc, s52, v3
	v_cmp_le_u32_e64 s[44:45], s52, v4
	v_cndmask_b32_e64 v18, v8, v9, s[34:35]
	v_add_u32_e32 v8, s53, v19
	v_xor_b32_e32 v8, s53, v8
	v_mul_hi_u32 v9, v8, v2
	v_mul_lo_u32 v9, v9, s52
	v_sub_u32_e32 v8, v8, v9
	v_subrev_u32_e32 v9, s52, v8
	v_cmp_le_u32_e64 s[36:37], s52, v8
	v_cmp_le_u32_e64 s[46:47], s52, v5
	v_cmp_le_u32_e64 s[16:17], s52, v6
	v_cndmask_b32_e64 v19, v8, v9, s[36:37]
	v_add_u32_e32 v8, s53, v20
	v_xor_b32_e32 v8, s53, v8
	v_mul_hi_u32 v9, v8, v2
	v_mul_lo_u32 v9, v9, s52
	v_sub_u32_e32 v8, v8, v9
	v_subrev_u32_e32 v9, s52, v8
	v_cmp_le_u32_e64 s[38:39], s52, v8
	v_cmp_le_u32_e64 s[18:19], s52, v7
	;; [unrolled: 10-line block ×4, first 2 shown]
	v_cmp_le_u32_e64 s[28:29], s52, v16
	v_cndmask_b32_e64 v22, v8, v9, s[42:43]
	.loc	1 54 38                         ; fp8_utils_aot.py:54:38
	v_or_b32_e32 v8, s61, v33
	.loc	1 55 68                         ; fp8_utils_aot.py:55:68
	v_cmp_le_u32_e64 s[30:31], s52, v17
	v_cmp_le_u32_e64 s[34:35], s52, v18
	;; [unrolled: 1-line block ×4, first 2 shown]
	v_accvgpr_write_b32 a1, v11
	v_cmp_le_u32_e64 s[40:41], s52, v21
	v_accvgpr_write_b32 a0, v10
	v_cmp_le_u32_e64 s[42:43], s52, v22
	.loc	1 65 22                         ; fp8_utils_aot.py:65:22
	s_cmpk_lt_i32 s6, 0x80
	v_mov_b32_e32 v77, 0
	v_mov_b32_e32 v76, 0
	;; [unrolled: 1-line block ×28, first 2 shown]
	.loc	1 54 38                         ; fp8_utils_aot.py:54:38
	v_or_b32_e32 v36, 32, v8
	.loc	1 65 22                         ; fp8_utils_aot.py:65:22
	s_cbranch_scc1 .LBB0_258
; %bb.1:                                ; %.lr.ph
	.loc	1 0 0 is_stmt 0                 ; fp8_utils_aot.py:0
	s_bfe_i32 s55, s7, 0x10019
	s_sub_i32 s7, 0, s1
	s_mul_i32 s7, s7, s57
	v_writelane_b32 v254, s12, 3
	v_accvgpr_write_b32 a16, v8
	v_add_u32_e32 v8, s55, v8
	s_mul_hi_u32 s7, s57, s7
	s_load_dwordx4 s[48:51], s[58:59], 0x38
	s_load_dword s13, s[58:59], 0x48
	v_writelane_b32 v254, s58, 4
	v_xor_b32_e32 v32, s55, v8
	s_add_i32 s7, s57, s7
	v_add_u32_e32 v8, s55, v36
	v_writelane_b32 v254, s59, 5
	s_load_dwordx4 s[64:67], s[58:59], 0x54
	v_and_or_b32 v34, v0, 63, s0
	v_mad_u64_u32 v[10:11], s[58:59], v32, s7, 0
	v_xor_b32_e32 v35, s55, v8
	v_mad_u64_u32 v[8:9], s[58:59], v35, s7, 0
	v_and_b32_e32 v189, 0x7f, v34
	v_subrev_u32_e32 v10, s52, v3
	v_or_b32_e32 v8, s56, v189
	v_cndmask_b32_e32 v3, v3, v10, vcc
	v_subrev_u32_e32 v10, s52, v4
	v_cndmask_b32_e64 v4, v4, v10, s[44:45]
	v_subrev_u32_e32 v10, s52, v5
	v_add_u32_e32 v8, s53, v8
	v_xor_b32_e32 v3, s53, v3
	v_cndmask_b32_e64 v5, v5, v10, s[46:47]
	v_subrev_u32_e32 v10, s52, v6
	v_xor_b32_e32 v45, s53, v8
	v_subrev_u32_e32 v3, s53, v3
	v_cndmask_b32_e64 v6, v6, v10, s[16:17]
	v_mad_u64_u32 v[24:25], s[16:17], v45, v2, 0
	v_sub_u32_e32 v2, 0, v3
	s_abs_i32 s17, s15
	v_max_i32_e32 v55, v2, v3
	v_cvt_f32_u32_e32 v2, s17
	v_subrev_u32_e32 v10, s52, v7
	v_cndmask_b32_e64 v7, v7, v10, s[18:19]
	v_subrev_u32_e32 v10, s52, v12
	v_rcp_iflag_f32_e32 v2, v2
	v_cndmask_b32_e64 v10, v12, v10, s[20:21]
	v_subrev_u32_e32 v12, s52, v13
	v_cndmask_b32_e64 v12, v13, v12, s[22:23]
	v_subrev_u32_e32 v13, s52, v14
	v_mul_f32_e32 v2, 0x4f7ffffe, v2
	v_cndmask_b32_e64 v13, v14, v13, s[24:25]
	v_subrev_u32_e32 v14, s52, v15
	v_cvt_u32_f32_e32 v2, v2
	v_cndmask_b32_e64 v14, v15, v14, s[26:27]
	v_subrev_u32_e32 v15, s52, v16
	v_cndmask_b32_e64 v15, v16, v15, s[28:29]
	v_subrev_u32_e32 v16, s52, v17
	;; [unrolled: 2-line block ×3, first 2 shown]
	s_ashr_i32 s16, s15, 31
	s_sub_i32 s15, 0, s17
	v_xor_b32_e32 v4, s53, v4
	v_cndmask_b32_e64 v17, v18, v17, s[34:35]
	v_ashrrev_i32_e32 v8, 31, v3
	v_mul_lo_u32 v3, s15, v2
	v_subrev_u32_e32 v4, s53, v4
	v_xor_b32_e32 v5, s53, v5
	v_xor_b32_e32 v17, s53, v17
	v_mul_hi_u32 v3, v2, v3
	v_subrev_u32_e32 v5, s53, v5
	v_xor_b32_e32 v6, s53, v6
	v_subrev_u32_e32 v50, s53, v17
	v_subrev_u32_e32 v17, s52, v19
	v_add_u32_e32 v2, v2, v3
	v_sub_u32_e32 v3, 0, v4
	v_subrev_u32_e32 v6, s53, v6
	v_xor_b32_e32 v7, s53, v7
	v_cndmask_b32_e64 v17, v19, v17, s[36:37]
	v_max_i32_e32 v57, v3, v4
	v_sub_u32_e32 v3, 0, v5
	v_subrev_u32_e32 v7, s53, v7
	v_xor_b32_e32 v10, s53, v10
	v_xor_b32_e32 v17, s53, v17
	v_max_i32_e32 v59, v3, v5
	v_sub_u32_e32 v3, 0, v6
	v_subrev_u32_e32 v10, s53, v10
	v_xor_b32_e32 v12, s53, v12
	v_subrev_u32_e32 v51, s53, v17
	v_subrev_u32_e32 v17, s52, v20
	v_max_i32_e32 v61, v3, v6
	v_sub_u32_e32 v3, 0, v7
	v_subrev_u32_e32 v12, s53, v12
	v_xor_b32_e32 v13, s53, v13
	v_cndmask_b32_e64 v17, v20, v17, s[38:39]
	v_max_i32_e32 v63, v3, v7
	v_sub_u32_e32 v3, 0, v10
	v_subrev_u32_e32 v13, s53, v13
	v_xor_b32_e32 v14, s53, v14
	v_xor_b32_e32 v17, s53, v17
	v_max_i32_e32 v49, v3, v10
	v_sub_u32_e32 v3, 0, v12
	v_subrev_u32_e32 v14, s53, v14
	v_xor_b32_e32 v15, s53, v15
	v_subrev_u32_e32 v52, s53, v17
	v_subrev_u32_e32 v17, s52, v21
	v_max_i32_e32 v47, v3, v12
	v_sub_u32_e32 v3, 0, v13
	v_subrev_u32_e32 v15, s53, v15
	v_xor_b32_e32 v16, s53, v16
	v_cndmask_b32_e64 v17, v21, v17, s[40:41]
	v_mad_u64_u32 v[40:41], s[18:19], v57, v2, 0
	v_max_i32_e32 v44, v3, v13
	v_sub_u32_e32 v3, 0, v14
	v_accvgpr_write_b32 a9, v36
	v_subrev_u32_e32 v16, s53, v16
	v_xor_b32_e32 v17, s53, v17
	v_mad_u64_u32 v[36:37], s[18:19], v61, v2, 0
	v_max_i32_e32 v40, v3, v14
	v_sub_u32_e32 v3, 0, v15
	v_subrev_u32_e32 v53, s53, v17
	v_subrev_u32_e32 v17, s52, v22
	v_mad_u64_u32 v[28:29], s[18:19], v49, v2, 0
	v_max_i32_e32 v36, v3, v15
	v_sub_u32_e32 v3, 0, v16
	v_cndmask_b32_e64 v17, v22, v17, s[42:43]
	v_max_i32_e32 v28, v3, v16
	v_sub_u32_e32 v3, 0, v50
	v_xor_b32_e32 v17, s53, v17
	v_mad_u64_u32 v[26:27], s[18:19], v47, v2, 0
	v_mad_u64_u32 v[20:21], s[18:19], v40, v2, 0
	v_max_i32_e32 v24, v3, v50
	v_sub_u32_e32 v3, 0, v51
	v_subrev_u32_e32 v54, s53, v17
	v_mad_u64_u32 v[42:43], s[18:19], v55, v2, 0
	v_ashrrev_i32_e32 v26, 31, v16
	v_mad_u64_u32 v[16:17], s[18:19], v28, v2, 0
	v_max_i32_e32 v20, v3, v51
	v_sub_u32_e32 v3, 0, v52
	v_ashrrev_i32_e32 v46, 31, v12
	v_ashrrev_i32_e32 v42, 31, v13
	v_mad_u64_u32 v[12:13], s[18:19], v20, v2, 0
	v_max_i32_e32 v16, v3, v52
	v_sub_u32_e32 v3, 0, v53
	v_ashrrev_i32_e32 v60, 31, v6
	v_ashrrev_i32_e32 v62, 31, v7
	v_mad_u64_u32 v[6:7], s[18:19], v16, v2, 0
	v_max_i32_e32 v12, v3, v53
	v_sub_u32_e32 v3, 0, v54
	v_mad_u64_u32 v[38:39], s[18:19], v59, v2, 0
	v_mad_u64_u32 v[30:31], s[18:19], v63, v2, 0
	v_max_i32_e32 v6, v3, v54
	v_ashrrev_i32_e32 v56, 31, v4
	v_ashrrev_i32_e32 v58, 31, v5
	v_mad_u64_u32 v[22:23], s[18:19], v44, v2, 0
	v_ashrrev_i32_e32 v38, 31, v14
	v_ashrrev_i32_e32 v30, 31, v15
	v_mad_u64_u32 v[18:19], s[18:19], v36, v2, 0
	v_mad_u64_u32 v[14:15], s[18:19], v24, v2, 0
	;; [unrolled: 1-line block ×4, first 2 shown]
	.loc	1 54 68 is_stmt 1               ; fp8_utils_aot.py:54:68
	v_mul_lo_u32 v2, v11, s1
	v_sub_u32_e32 v2, v32, v2
	v_cmp_le_u32_e32 vcc, s1, v2
	v_subrev_u32_e32 v11, s1, v2
	v_mul_lo_u32 v9, v9, s1
	v_cndmask_b32_e32 v2, v2, v11, vcc
	v_cmp_le_u32_e32 vcc, s1, v2
	v_subrev_u32_e32 v11, s1, v2
	v_sub_u32_e32 v9, v35, v9
	v_cndmask_b32_e32 v2, v2, v11, vcc
	v_cmp_le_u32_e32 vcc, s1, v9
	v_subrev_u32_e32 v11, s1, v9
	v_xor_b32_e32 v2, s55, v2
	v_cndmask_b32_e32 v9, v9, v11, vcc
	v_cmp_le_u32_e32 vcc, s1, v9
	v_subrev_u32_e32 v11, s1, v9
	v_subrev_u32_e32 v2, s55, v2
	v_cndmask_b32_e32 v9, v9, v11, vcc
	.loc	1 55 68                         ; fp8_utils_aot.py:55:68
	v_mul_lo_u32 v11, v25, s52
	v_sub_u32_e32 v11, v45, v11
	v_cmp_le_u32_e32 vcc, s52, v11
	v_subrev_u32_e32 v25, s52, v11
	.loc	1 0 0 is_stmt 0                 ; fp8_utils_aot.py:0
	v_ashrrev_i32_e32 v22, 31, v50
	.loc	1 55 68                         ; fp8_utils_aot.py:55:68
	v_cndmask_b32_e32 v11, v11, v25, vcc
	v_cmp_le_u32_e32 vcc, s52, v11
	v_subrev_u32_e32 v25, s52, v11
	.loc	1 54 68 is_stmt 1               ; fp8_utils_aot.py:54:68
	v_xor_b32_e32 v9, s55, v9
	.loc	1 55 68                         ; fp8_utils_aot.py:55:68
	v_cndmask_b32_e32 v11, v11, v25, vcc
	v_xor_b32_e32 v11, s53, v11
	.loc	1 60 29                         ; fp8_utils_aot.py:60:29
	s_waitcnt lgkmcnt(0)
	v_mul_lo_u32 v50, v2, s64
	.loc	1 61 26                         ; fp8_utils_aot.py:61:26
	v_xor_b32_e32 v2, s16, v8
	v_mul_lo_u32 v8, v43, s17
	.loc	1 54 68                         ; fp8_utils_aot.py:54:68
	v_subrev_u32_e32 v9, s55, v9
	.loc	1 55 68                         ; fp8_utils_aot.py:55:68
	v_subrev_u32_e32 v11, s53, v11
	.loc	1 61 26                         ; fp8_utils_aot.py:61:26
	v_sub_u32_e32 v8, v55, v8
	.loc	1 0 0 is_stmt 0                 ; fp8_utils_aot.py:0
	v_ashrrev_i32_e32 v14, 31, v52
	.loc	1 58 67 is_stmt 1               ; fp8_utils_aot.py:58:67
	v_mul_lo_u32 v35, v11, s13
	.loc	1 60 29                         ; fp8_utils_aot.py:60:29
	v_mul_lo_u32 v52, v9, s64
	.loc	1 61 26                         ; fp8_utils_aot.py:61:26
	v_cmp_le_u32_e32 vcc, s17, v8
	v_add_u32_e32 v9, 1, v43
	v_subrev_u32_e32 v11, s17, v8
	v_cndmask_b32_e32 v9, v43, v9, vcc
	v_cndmask_b32_e32 v8, v8, v11, vcc
	v_cmp_le_u32_e32 vcc, s17, v8
	v_add_u32_e32 v8, 1, v9
	v_add_u32_e32 v11, 1, v41
	v_cndmask_b32_e32 v8, v9, v8, vcc
	v_mul_lo_u32 v9, v41, s17
	v_sub_u32_e32 v9, v57, v9
	v_cmp_le_u32_e32 vcc, s17, v9
	v_subrev_u32_e32 v25, s17, v9
	v_xor_b32_e32 v8, v8, v2
	v_cndmask_b32_e32 v11, v41, v11, vcc
	v_cndmask_b32_e32 v9, v9, v25, vcc
	v_cmp_le_u32_e32 vcc, s17, v9
	v_add_u32_e32 v9, 1, v11
	v_add_u32_e32 v25, 1, v39
	v_cndmask_b32_e32 v9, v11, v9, vcc
	v_mul_lo_u32 v11, v39, s17
	v_sub_u32_e32 v11, v59, v11
	v_cmp_le_u32_e32 vcc, s17, v11
	v_subrev_u32_e32 v32, s17, v11
	v_sub_u32_e32 v2, v8, v2
	v_cndmask_b32_e32 v25, v39, v25, vcc
	v_cndmask_b32_e32 v11, v11, v32, vcc
	v_cmp_le_u32_e32 vcc, s17, v11
	v_add_u32_e32 v11, 1, v25
	v_add_u32_e32 v32, 1, v37
	v_cndmask_b32_e32 v11, v25, v11, vcc
	v_mul_lo_u32 v25, v37, s17
	v_sub_u32_e32 v25, v61, v25
	v_cmp_le_u32_e32 vcc, s17, v25
	v_xor_b32_e32 v8, s16, v56
	v_xor_b32_e32 v9, v9, v8
	v_cndmask_b32_e32 v32, v37, v32, vcc
	v_subrev_u32_e32 v37, s17, v25
	v_cndmask_b32_e32 v25, v25, v37, vcc
	v_cmp_le_u32_e32 vcc, s17, v25
	v_add_u32_e32 v25, 1, v32
	v_add_u32_e32 v37, 1, v31
	v_cndmask_b32_e32 v25, v32, v25, vcc
	v_mul_lo_u32 v32, v31, s17
	v_sub_u32_e32 v32, v63, v32
	v_cmp_le_u32_e32 vcc, s17, v32
	v_sub_u32_e32 v8, v9, v8
	v_xor_b32_e32 v9, s16, v58
	v_cndmask_b32_e32 v31, v31, v37, vcc
	v_subrev_u32_e32 v37, s17, v32
	v_cndmask_b32_e32 v32, v32, v37, vcc
	v_cmp_le_u32_e32 vcc, s17, v32
	v_add_u32_e32 v32, 1, v31
	v_add_u32_e32 v37, 1, v29
	v_cndmask_b32_e32 v31, v31, v32, vcc
	v_mul_lo_u32 v32, v29, s17
	v_sub_u32_e32 v32, v49, v32
	v_cmp_le_u32_e32 vcc, s17, v32
	v_xor_b32_e32 v11, v11, v9
	v_sub_u32_e32 v9, v11, v9
	v_cndmask_b32_e32 v29, v29, v37, vcc
	v_subrev_u32_e32 v37, s17, v32
	v_cndmask_b32_e32 v32, v32, v37, vcc
	v_cmp_le_u32_e32 vcc, s17, v32
	v_add_u32_e32 v32, 1, v29
	v_add_u32_e32 v37, 1, v27
	v_cndmask_b32_e32 v29, v29, v32, vcc
	v_mul_lo_u32 v32, v27, s17
	v_sub_u32_e32 v32, v47, v32
	v_cmp_le_u32_e32 vcc, s17, v32
	v_xor_b32_e32 v11, s16, v60
	v_xor_b32_e32 v25, v25, v11
	v_cndmask_b32_e32 v27, v27, v37, vcc
	v_subrev_u32_e32 v37, s17, v32
	v_cndmask_b32_e32 v32, v32, v37, vcc
	v_cmp_le_u32_e32 vcc, s17, v32
	v_add_u32_e32 v32, 1, v27
	v_add_u32_e32 v37, 1, v23
	v_cndmask_b32_e32 v27, v27, v32, vcc
	v_mul_lo_u32 v32, v23, s17
	v_sub_u32_e32 v32, v44, v32
	v_cmp_le_u32_e32 vcc, s17, v32
	v_sub_u32_e32 v11, v25, v11
	v_xor_b32_e32 v25, s16, v62
	v_cndmask_b32_e32 v23, v23, v37, vcc
	v_subrev_u32_e32 v37, s17, v32
	v_cndmask_b32_e32 v32, v32, v37, vcc
	.loc	1 0 0 is_stmt 0                 ; fp8_utils_aot.py:0
	v_ashrrev_i32_e32 v48, 31, v10
	.loc	1 61 26                         ; fp8_utils_aot.py:61:26
	v_xor_b32_e32 v31, v31, v25
	v_cmp_le_u32_e32 vcc, s17, v32
	v_add_u32_e32 v32, 1, v23
	v_sub_u32_e32 v25, v31, v25
	v_xor_b32_e32 v31, s16, v48
	v_cndmask_b32_e32 v23, v23, v32, vcc
	v_mul_lo_u32 v32, v21, s17
	v_xor_b32_e32 v29, v29, v31
	v_sub_u32_e32 v32, v40, v32
	v_sub_u32_e32 v29, v29, v31
	v_xor_b32_e32 v31, s16, v46
	v_cmp_le_u32_e32 vcc, s17, v32
	v_add_u32_e32 v37, 1, v21
	v_xor_b32_e32 v27, v27, v31
	v_cndmask_b32_e32 v21, v21, v37, vcc
	v_subrev_u32_e32 v37, s17, v32
	v_sub_u32_e32 v27, v27, v31
	v_xor_b32_e32 v31, s16, v42
	v_cndmask_b32_e32 v32, v32, v37, vcc
	v_xor_b32_e32 v23, v23, v31
	v_cmp_le_u32_e32 vcc, s17, v32
	v_add_u32_e32 v32, 1, v21
	v_sub_u32_e32 v23, v23, v31
	v_xor_b32_e32 v31, s16, v38
	v_cndmask_b32_e32 v21, v21, v32, vcc
	v_xor_b32_e32 v21, v21, v31
	v_sub_u32_e32 v21, v21, v31
	v_mul_lo_u32 v31, v19, s17
	v_sub_u32_e32 v31, v36, v31
	v_cmp_le_u32_e32 vcc, s17, v31
	v_add_u32_e32 v32, 1, v19
	v_xor_b32_e32 v30, s16, v30
	v_cndmask_b32_e32 v19, v19, v32, vcc
	v_subrev_u32_e32 v32, s17, v31
	v_cndmask_b32_e32 v31, v31, v32, vcc
	v_cmp_le_u32_e32 vcc, s17, v31
	v_add_u32_e32 v31, 1, v19
	v_xor_b32_e32 v26, s16, v26
	v_cndmask_b32_e32 v19, v19, v31, vcc
	v_xor_b32_e32 v19, v19, v30
	v_sub_u32_e32 v19, v19, v30
	v_mul_lo_u32 v30, v17, s17
	v_sub_u32_e32 v28, v28, v30
	v_cmp_le_u32_e32 vcc, s17, v28
	v_add_u32_e32 v30, 1, v17
	v_xor_b32_e32 v22, s16, v22
	v_cndmask_b32_e32 v17, v17, v30, vcc
	v_subrev_u32_e32 v30, s17, v28
	v_cndmask_b32_e32 v28, v28, v30, vcc
	v_cmp_le_u32_e32 vcc, s17, v28
	v_add_u32_e32 v28, 1, v17
	.loc	1 0 0                           ; fp8_utils_aot.py:0
	v_ashrrev_i32_e32 v18, 31, v51
	.loc	1 61 26                         ; fp8_utils_aot.py:61:26
	v_cndmask_b32_e32 v17, v17, v28, vcc
	v_xor_b32_e32 v17, v17, v26
	v_sub_u32_e32 v17, v17, v26
	v_mul_lo_u32 v26, v15, s17
	v_sub_u32_e32 v24, v24, v26
	v_cmp_le_u32_e32 vcc, s17, v24
	v_add_u32_e32 v26, 1, v15
	v_xor_b32_e32 v18, s16, v18
	v_cndmask_b32_e32 v15, v15, v26, vcc
	v_subrev_u32_e32 v26, s17, v24
	v_cndmask_b32_e32 v24, v24, v26, vcc
	v_cmp_le_u32_e32 vcc, s17, v24
	v_add_u32_e32 v24, 1, v15
	.loc	1 54 51 is_stmt 1               ; fp8_utils_aot.py:54:51
	s_and_b32 s15, s60, 0x80
	.loc	1 61 26                         ; fp8_utils_aot.py:61:26
	v_cndmask_b32_e32 v15, v15, v24, vcc
	v_xor_b32_e32 v15, v15, v22
	v_sub_u32_e32 v15, v15, v22
	v_mul_lo_u32 v22, v13, s17
	v_sub_u32_e32 v20, v20, v22
	v_cmp_le_u32_e32 vcc, s17, v20
	v_add_u32_e32 v22, 1, v13
	.loc	1 58 25                         ; fp8_utils_aot.py:58:25
	s_lshr_b32 s15, s15, 4
	.loc	1 61 26                         ; fp8_utils_aot.py:61:26
	v_cndmask_b32_e32 v13, v13, v22, vcc
	v_subrev_u32_e32 v22, s17, v20
	v_cndmask_b32_e32 v20, v20, v22, vcc
	v_cmp_le_u32_e32 vcc, s17, v20
	v_add_u32_e32 v20, 1, v13
	.loc	1 58 25                         ; fp8_utils_aot.py:58:25
	s_or_b32 s12, s15, 1
	.loc	1 61 26                         ; fp8_utils_aot.py:61:26
	v_cndmask_b32_e32 v13, v13, v20, vcc
	v_xor_b32_e32 v13, v13, v18
	v_sub_u32_e32 v13, v13, v18
	v_mul_lo_u32 v18, v7, s17
	v_sub_u32_e32 v16, v16, v18
	v_cmp_le_u32_e32 vcc, s17, v16
	v_add_u32_e32 v18, 1, v7
	.loc	1 58 25                         ; fp8_utils_aot.py:58:25
	v_writelane_b32 v254, s12, 6
	.loc	1 61 26                         ; fp8_utils_aot.py:61:26
	v_cndmask_b32_e32 v7, v7, v18, vcc
	v_subrev_u32_e32 v18, s17, v16
	.loc	1 58 25                         ; fp8_utils_aot.py:58:25
	s_or_b32 s12, s15, 2
	.loc	1 61 26                         ; fp8_utils_aot.py:61:26
	v_cndmask_b32_e32 v16, v16, v18, vcc
	.loc	1 58 25                         ; fp8_utils_aot.py:58:25
	v_writelane_b32 v254, s12, 7
	s_or_b32 s12, s15, 3
	.loc	1 61 26                         ; fp8_utils_aot.py:61:26
	v_cmp_le_u32_e32 vcc, s17, v16
	v_add_u32_e32 v16, 1, v7
	.loc	1 58 25                         ; fp8_utils_aot.py:58:25
	v_writelane_b32 v254, s12, 8
	s_or_b32 s12, s15, 4
	.loc	1 61 26                         ; fp8_utils_aot.py:61:26
	v_xor_b32_e32 v14, s16, v14
	v_cndmask_b32_e32 v7, v7, v16, vcc
	.loc	1 58 25                         ; fp8_utils_aot.py:58:25
	v_writelane_b32 v254, s12, 9
	s_or_b32 s12, s15, 5
	.loc	1 61 26                         ; fp8_utils_aot.py:61:26
	v_xor_b32_e32 v7, v7, v14
	.loc	1 58 25                         ; fp8_utils_aot.py:58:25
	v_writelane_b32 v254, s12, 10
	s_or_b32 s12, s15, 6
	.loc	1 61 26                         ; fp8_utils_aot.py:61:26
	v_sub_u32_e32 v7, v7, v14
	v_mul_lo_u32 v14, v5, s17
	.loc	1 58 25                         ; fp8_utils_aot.py:58:25
	v_writelane_b32 v254, s12, 11
	s_or_b32 s12, s15, 7
	.loc	1 61 26                         ; fp8_utils_aot.py:61:26
	v_sub_u32_e32 v12, v12, v14
	.loc	1 58 25                         ; fp8_utils_aot.py:58:25
	v_writelane_b32 v254, s12, 12
	s_or_b32 s12, s15, 16
	.loc	1 61 26                         ; fp8_utils_aot.py:61:26
	v_cmp_le_u32_e32 vcc, s17, v12
	v_add_u32_e32 v14, 1, v5
	.loc	1 58 25                         ; fp8_utils_aot.py:58:25
	v_writelane_b32 v254, s12, 13
	s_or_b32 s12, s15, 17
	.loc	1 61 26                         ; fp8_utils_aot.py:61:26
	v_cndmask_b32_e32 v5, v5, v14, vcc
	v_subrev_u32_e32 v14, s17, v12
	.loc	1 58 25                         ; fp8_utils_aot.py:58:25
	v_writelane_b32 v254, s12, 14
	s_or_b32 s12, s15, 18
	.loc	1 61 26                         ; fp8_utils_aot.py:61:26
	v_cndmask_b32_e32 v12, v12, v14, vcc
	.loc	1 0 0 is_stmt 0                 ; fp8_utils_aot.py:0
	v_ashrrev_i32_e32 v10, 31, v53
	.loc	1 58 25 is_stmt 1               ; fp8_utils_aot.py:58:25
	v_writelane_b32 v254, s12, 15
	s_or_b32 s12, s15, 19
	.loc	1 61 26                         ; fp8_utils_aot.py:61:26
	v_cmp_le_u32_e32 vcc, s17, v12
	v_add_u32_e32 v12, 1, v5
	.loc	1 58 25                         ; fp8_utils_aot.py:58:25
	v_writelane_b32 v254, s12, 16
	s_or_b32 s12, s15, 20
	.loc	1 61 26                         ; fp8_utils_aot.py:61:26
	v_xor_b32_e32 v10, s16, v10
	v_cndmask_b32_e32 v5, v5, v12, vcc
	.loc	1 58 25                         ; fp8_utils_aot.py:58:25
	v_writelane_b32 v254, s12, 17
	s_or_b32 s12, s15, 21
	.loc	1 61 26                         ; fp8_utils_aot.py:61:26
	v_xor_b32_e32 v5, v5, v10
	.loc	1 58 25                         ; fp8_utils_aot.py:58:25
	v_writelane_b32 v254, s12, 18
	s_or_b32 s12, s15, 22
	.loc	1 61 26                         ; fp8_utils_aot.py:61:26
	v_sub_u32_e32 v5, v5, v10
	v_mul_lo_u32 v10, v3, s17
	.loc	1 58 25                         ; fp8_utils_aot.py:58:25
	v_writelane_b32 v254, s12, 19
	s_or_b32 s12, s15, 23
	.loc	1 61 26                         ; fp8_utils_aot.py:61:26
	v_sub_u32_e32 v6, v6, v10
	.loc	1 58 25                         ; fp8_utils_aot.py:58:25
	v_writelane_b32 v254, s12, 20
	s_or_b32 s12, s15, 32
	.loc	1 61 26                         ; fp8_utils_aot.py:61:26
	v_cmp_le_u32_e32 vcc, s17, v6
	v_add_u32_e32 v10, 1, v3
	.loc	1 58 25                         ; fp8_utils_aot.py:58:25
	v_writelane_b32 v254, s12, 21
	s_or_b32 s12, s15, 33
	.loc	1 61 26                         ; fp8_utils_aot.py:61:26
	v_cndmask_b32_e32 v3, v3, v10, vcc
	v_subrev_u32_e32 v10, s17, v6
	.loc	1 58 25                         ; fp8_utils_aot.py:58:25
	v_writelane_b32 v254, s12, 22
	s_or_b32 s12, s15, 34
	.loc	1 61 26                         ; fp8_utils_aot.py:61:26
	v_cndmask_b32_e32 v6, v6, v10, vcc
	.loc	1 0 0 is_stmt 0                 ; fp8_utils_aot.py:0
	v_ashrrev_i32_e32 v4, 31, v54
	.loc	1 58 25 is_stmt 1               ; fp8_utils_aot.py:58:25
	v_writelane_b32 v254, s12, 23
	s_or_b32 s12, s15, 35
	.loc	1 61 26                         ; fp8_utils_aot.py:61:26
	v_cmp_le_u32_e32 vcc, s17, v6
	v_add_u32_e32 v6, 1, v3
	.loc	1 58 25                         ; fp8_utils_aot.py:58:25
	v_writelane_b32 v254, s12, 24
	s_or_b32 s12, s15, 36
	.loc	1 61 26                         ; fp8_utils_aot.py:61:26
	v_xor_b32_e32 v4, s16, v4
	v_cndmask_b32_e32 v3, v3, v6, vcc
	.loc	1 58 25                         ; fp8_utils_aot.py:58:25
	v_writelane_b32 v254, s12, 25
	s_or_b32 s12, s15, 37
	.loc	1 61 26                         ; fp8_utils_aot.py:61:26
	v_xor_b32_e32 v3, v3, v4
	.loc	1 58 25                         ; fp8_utils_aot.py:58:25
	v_writelane_b32 v254, s12, 26
	.loc	1 61 26                         ; fp8_utils_aot.py:61:26
	v_sub_u32_e32 v3, v3, v4
	.loc	1 62 30                         ; fp8_utils_aot.py:62:30
	v_mul_lo_u32 v2, v2, s67
	v_mul_lo_u32 v4, v8, s67
	;; [unrolled: 1-line block ×15, first 2 shown]
	v_writelane_b32 v254, s64, 27
	.loc	1 62 19 is_stmt 0               ; fp8_utils_aot.py:62:19
	v_ashrrev_i32_e32 v5, 31, v4
	v_ashrrev_i32_e32 v7, 31, v6
	.loc	1 62 30                         ; fp8_utils_aot.py:62:30
	v_mul_lo_u32 v36, v3, s67
	.loc	1 62 19                         ; fp8_utils_aot.py:62:19
	v_ashrrev_i32_e32 v3, 31, v2
	v_lshl_add_u64 v[2:3], v[2:3], 2, s[10:11]
	v_accvgpr_write_b32 a23, v3
	v_accvgpr_write_b32 a22, v2
	v_lshl_add_u64 v[2:3], v[4:5], 2, s[10:11]
	v_accvgpr_write_b32 a25, v3
	v_accvgpr_write_b32 a24, v2
	v_lshl_add_u64 v[2:3], v[6:7], 2, s[10:11]
	v_accvgpr_write_b32 a27, v3
	v_ashrrev_i32_e32 v9, 31, v8
	v_accvgpr_write_b32 a26, v2
	v_lshl_add_u64 v[2:3], v[8:9], 2, s[10:11]
	v_accvgpr_write_b32 a29, v3
	v_ashrrev_i32_e32 v11, 31, v10
	;; [unrolled: 4-line block ×10, first 2 shown]
	.loc	1 60 19 is_stmt 1               ; fp8_utils_aot.py:60:19
	v_ashrrev_i32_e32 v51, 31, v50
	v_accvgpr_write_b32 a44, v2
	.loc	1 62 19                         ; fp8_utils_aot.py:62:19
	v_lshl_add_u64 v[2:3], v[26:27], 2, s[10:11]
	.loc	1 60 19                         ; fp8_utils_aot.py:60:19
	v_lshl_add_u64 v[50:51], v[50:51], 2, s[8:9]
	v_accvgpr_write_b32 a47, v3
	.loc	1 62 19                         ; fp8_utils_aot.py:62:19
	v_ashrrev_i32_e32 v29, 31, v28
	v_accvgpr_write_b32 a18, v50
	.loc	1 60 19                         ; fp8_utils_aot.py:60:19
	v_ashrrev_i32_e32 v53, 31, v52
	v_accvgpr_write_b32 a46, v2
	.loc	1 62 19                         ; fp8_utils_aot.py:62:19
	v_lshl_add_u64 v[2:3], v[28:29], 2, s[10:11]
	v_accvgpr_write_b32 a19, v51
	.loc	1 60 19                         ; fp8_utils_aot.py:60:19
	v_lshl_add_u64 v[50:51], v[52:53], 2, s[8:9]
	v_accvgpr_write_b32 a49, v3
	.loc	1 62 19                         ; fp8_utils_aot.py:62:19
	v_ashrrev_i32_e32 v31, 31, v30
.Ltmp13:
	.loc	2 43 30                         ; standard.py:43:30 @[ fp8_utils_aot.py:65:33 ]
	s_ashr_i32 s8, s6, 31
	v_accvgpr_write_b32 a48, v2
.Ltmp14:
	.loc	1 62 19                         ; fp8_utils_aot.py:62:19
	v_lshl_add_u64 v[2:3], v[30:31], 2, s[10:11]
.Ltmp15:
	.loc	2 43 30                         ; standard.py:43:30 @[ fp8_utils_aot.py:65:33 ]
	s_lshr_b32 s8, s8, 25
	v_accvgpr_write_b32 a51, v3
	s_add_i32 s6, s6, s8
.Ltmp16:
	.loc	1 58 36                         ; fp8_utils_aot.py:58:36
	s_mul_i32 s8, s15, s51
	v_accvgpr_write_b32 a50, v2
	.loc	1 58 48 is_stmt 0               ; fp8_utils_aot.py:58:48
	v_add_u32_e32 v2, s8, v35
	.loc	1 54 51 is_stmt 1               ; fp8_utils_aot.py:54:51
	s_bfe_u32 s8, s60, 0x10007
	s_or_b32 s46, s61, s8
	.loc	1 54 68 is_stmt 0               ; fp8_utils_aot.py:54:68
	s_ashr_i32 s44, s61, 31
	s_add_i32 s46, s46, s44
	s_add_i32 s8, s46, 62
	s_xor_b32 s8, s8, s44
	s_mul_hi_u32 s9, s8, s7
	.loc	1 62 30 is_stmt 1               ; fp8_utils_aot.py:62:30
	v_writelane_b32 v254, s65, 28
	.loc	1 54 68                         ; fp8_utils_aot.py:54:68
	s_mul_i32 s9, s9, s1
	.loc	1 62 30                         ; fp8_utils_aot.py:62:30
	v_writelane_b32 v254, s66, 29
	.loc	1 54 68                         ; fp8_utils_aot.py:54:68
	s_sub_i32 s8, s8, s9
	.loc	1 54 51 is_stmt 0               ; fp8_utils_aot.py:54:51
	s_bfe_i32 s45, s60, 0x10007
	.loc	1 58 25 is_stmt 1               ; fp8_utils_aot.py:58:25
	s_or_b32 s79, s15, 38
	s_or_b32 s80, s15, 39
	;; [unrolled: 1-line block ×42, first 2 shown]
	.loc	1 62 30                         ; fp8_utils_aot.py:62:30
	v_writelane_b32 v254, s67, 30
.Ltmp17:
	.loc	2 43 30                         ; standard.py:43:30 @[ fp8_utils_aot.py:65:33 ]
	s_ashr_i32 s6, s6, 7
.Ltmp18:
	.loc	1 76 33                         ; fp8_utils_aot.py:76:33
	s_lshl_b32 s64, s51, 7
	.loc	1 75 33                         ; fp8_utils_aot.py:75:33
	s_lshl_b32 s65, s50, 7
	.loc	1 54 68                         ; fp8_utils_aot.py:54:68
	s_sub_i32 s9, s8, s1
	s_cmp_ge_u32 s8, s1
	s_cselect_b32 s8, s9, s8
	s_sub_i32 s9, s8, s1
	s_cmp_ge_u32 s8, s1
	s_cselect_b32 s8, s9, s8
	s_add_i32 s9, s46, 60
	.loc	1 62 19                         ; fp8_utils_aot.py:62:19
	v_ashrrev_i32_e32 v37, 31, v36
	.loc	1 54 68                         ; fp8_utils_aot.py:54:68
	s_xor_b32 s9, s9, s44
	.loc	1 62 19                         ; fp8_utils_aot.py:62:19
	v_lshl_add_u64 v[66:67], v[36:37], 2, s[10:11]
	.loc	1 54 68                         ; fp8_utils_aot.py:54:68
	s_mul_hi_u32 s10, s9, s7
	s_mul_i32 s10, s10, s1
	s_xor_b32 s8, s8, s44
	s_sub_i32 s9, s9, s10
	s_sub_i32 s8, s8, s44
	s_sub_i32 s10, s9, s1
	s_cmp_ge_u32 s9, s1
	s_cselect_b32 s9, s10, s9
	s_sub_i32 s10, s9, s1
	s_cmp_ge_u32 s9, s1
	s_cselect_b32 s9, s10, s9
	s_add_i32 s10, s46, 58
	s_xor_b32 s10, s10, s44
	s_mul_hi_u32 s11, s10, s7
	s_mul_i32 s11, s11, s1
	s_xor_b32 s9, s9, s44
	s_sub_i32 s10, s10, s11
	s_sub_i32 s9, s9, s44
	s_sub_i32 s11, s10, s1
	s_cmp_ge_u32 s10, s1
	s_cselect_b32 s10, s11, s10
	s_sub_i32 s11, s10, s1
	s_cmp_ge_u32 s10, s1
	s_cselect_b32 s10, s11, s10
	s_add_i32 s11, s46, 56
	s_xor_b32 s11, s11, s44
	;; [unrolled: 13-line block ×5, first 2 shown]
	s_mul_hi_u32 s18, s17, s7
	s_mul_i32 s18, s18, s1
	s_xor_b32 s16, s16, s44
	s_sub_i32 s17, s17, s18
	s_sub_i32 s16, s16, s44
	s_sub_i32 s18, s17, s1
	s_cmp_ge_u32 s17, s1
	s_cselect_b32 s17, s18, s17
	s_sub_i32 s18, s17, s1
	s_cmp_ge_u32 s17, s1
	s_cselect_b32 s17, s18, s17
	s_xor_b32 s17, s17, s44
	s_sub_i32 s18, s17, s44
	s_add_i32 s17, s46, 48
	s_xor_b32 s17, s17, s44
	s_mul_hi_u32 s19, s17, s7
	s_mul_i32 s19, s19, s1
	s_sub_i32 s17, s17, s19
	s_sub_i32 s19, s17, s1
	s_cmp_ge_u32 s17, s1
	s_cselect_b32 s17, s19, s17
	s_sub_i32 s19, s17, s1
	s_cmp_ge_u32 s17, s1
	s_cselect_b32 s17, s19, s17
	s_xor_b32 s17, s17, s44
	s_sub_i32 s19, s17, s44
	s_add_i32 s17, s46, 46
	s_xor_b32 s17, s17, s44
	s_mul_hi_u32 s20, s17, s7
	s_mul_i32 s20, s20, s1
	s_sub_i32 s17, s17, s20
	s_sub_i32 s20, s17, s1
	;; [unrolled: 13-line block ×9, first 2 shown]
	s_cmp_ge_u32 s17, s1
	s_cselect_b32 s17, s20, s17
	s_sub_i32 s20, s17, s1
	s_cmp_ge_u32 s17, s1
	s_cselect_b32 s17, s20, s17
	s_add_i32 s20, s46, 30
	s_xor_b32 s20, s20, s44
	s_mul_hi_u32 s23, s20, s7
	s_mul_i32 s23, s23, s1
	s_xor_b32 s17, s17, s44
	s_sub_i32 s20, s20, s23
	s_sub_i32 s17, s17, s44
	s_sub_i32 s23, s20, s1
	s_cmp_ge_u32 s20, s1
	s_cselect_b32 s20, s23, s20
	s_sub_i32 s23, s20, s1
	s_cmp_ge_u32 s20, s1
	s_cselect_b32 s20, s23, s20
	s_add_i32 s23, s46, 28
	s_xor_b32 s23, s23, s44
	s_mul_hi_u32 s25, s23, s7
	s_mul_i32 s25, s25, s1
	s_xor_b32 s20, s20, s44
	s_sub_i32 s23, s23, s25
	s_sub_i32 s20, s20, s44
	s_sub_i32 s25, s23, s1
	s_cmp_ge_u32 s23, s1
	s_cselect_b32 s23, s25, s23
	s_sub_i32 s25, s23, s1
	s_cmp_ge_u32 s23, s1
	s_cselect_b32 s23, s25, s23
	s_add_i32 s25, s46, 26
	s_xor_b32 s25, s25, s44
	s_mul_hi_u32 s27, s25, s7
	s_mul_i32 s27, s27, s1
	s_xor_b32 s23, s23, s44
	s_sub_i32 s25, s25, s27
	s_sub_i32 s23, s23, s44
	s_sub_i32 s27, s25, s1
	s_cmp_ge_u32 s25, s1
	s_cselect_b32 s25, s27, s25
	s_sub_i32 s27, s25, s1
	s_cmp_ge_u32 s25, s1
	s_cselect_b32 s25, s27, s25
	s_xor_b32 s25, s25, s44
	s_sub_i32 s27, s25, s44
	s_add_i32 s25, s46, 24
	s_xor_b32 s25, s25, s44
	s_mul_hi_u32 s28, s25, s7
	s_mul_i32 s28, s28, s1
	s_sub_i32 s25, s25, s28
	s_sub_i32 s28, s25, s1
	s_cmp_ge_u32 s25, s1
	s_cselect_b32 s25, s28, s25
	s_sub_i32 s28, s25, s1
	s_cmp_ge_u32 s25, s1
	s_cselect_b32 s25, s28, s25
	s_xor_b32 s25, s25, s44
	s_sub_i32 s31, s25, s44
	s_add_i32 s25, s46, 22
	s_xor_b32 s25, s25, s44
	s_mul_hi_u32 s28, s25, s7
	s_mul_i32 s28, s28, s1
	s_sub_i32 s25, s25, s28
	s_sub_i32 s28, s25, s1
	;; [unrolled: 13-line block ×4, first 2 shown]
	s_cmp_ge_u32 s25, s1
	s_cselect_b32 s25, s28, s25
	s_sub_i32 s28, s25, s1
	s_cmp_ge_u32 s25, s1
	s_cselect_b32 s25, s28, s25
	s_add_i32 s28, s46, 16
	s_xor_b32 s28, s28, s44
	s_mul_hi_u32 s34, s28, s7
	s_mul_i32 s34, s34, s1
	s_xor_b32 s25, s25, s44
	s_sub_i32 s28, s28, s34
	s_sub_i32 s25, s25, s44
	s_sub_i32 s34, s28, s1
	s_cmp_ge_u32 s28, s1
	s_cselect_b32 s28, s34, s28
	s_sub_i32 s34, s28, s1
	s_cmp_ge_u32 s28, s1
	s_cselect_b32 s28, s34, s28
	s_add_i32 s34, s46, 14
	s_xor_b32 s34, s34, s44
	s_mul_hi_u32 s37, s34, s7
	s_mul_i32 s37, s37, s1
	s_xor_b32 s28, s28, s44
	s_sub_i32 s34, s34, s37
	s_sub_i32 s28, s28, s44
	s_sub_i32 s37, s34, s1
	;; [unrolled: 13-line block ×8, first 2 shown]
	s_cmp_ge_u32 s43, s1
	s_cselect_b32 s43, s47, s43
	s_sub_i32 s47, s43, s1
	s_cmp_ge_u32 s43, s1
	s_cselect_b32 s43, s47, s43
	s_xor_b32 s46, s46, s44
	s_mul_hi_u32 s7, s46, s7
	s_mul_i32 s7, s7, s1
	s_xor_b32 s43, s43, s44
	s_sub_i32 s7, s46, s7
	s_sub_i32 s43, s43, s44
	;; [unrolled: 1-line block ×3, first 2 shown]
	s_cmp_ge_u32 s7, s1
	s_cselect_b32 s7, s46, s7
	s_sub_i32 s46, s7, s1
	s_cmp_ge_u32 s7, s1
	.loc	1 58 18                         ; fp8_utils_aot.py:58:18
	v_ashrrev_i32_e32 v3, 31, v2
	.loc	1 54 68                         ; fp8_utils_aot.py:54:68
	s_cselect_b32 s1, s46, s7
	v_accvgpr_write_b32 a53, v3
	s_xor_b32 s1, s1, s44
	v_accvgpr_write_b32 a52, v2
	s_sub_i32 s44, s1, s44
	s_and_b32 s1, s45, 0x84
	v_and_b32_e32 v2, 15, v0
	v_xor_b32_e32 v25, s1, v189
	v_lshlrev_b32_e32 v3, 2, v2
	s_abs_i32 s1, s48
	v_lshl_or_b32 v4, v33, 7, v3
	v_cvt_f32_u32_e32 v33, s1
	v_xor_b32_e32 v17, v4, v1
	v_lshrrev_b32_e32 v1, 2, v34
	v_and_b32_e32 v1, 28, v1
	v_rcp_iflag_f32_e32 v33, v33
	v_xor_b32_e32 v1, v3, v1
	v_lshl_or_b32 v3, s0, 6, v3
	v_writelane_b32 v254, s65, 31
	v_mul_f32_e32 v33, 0x4f7ffffe, v33
	s_ashr_i32 s0, s65, 31
	v_cvt_u32_f32_e32 v33, v33
	v_writelane_b32 v254, s0, 32
	v_writelane_b32 v254, s64, 33
	s_ashr_i32 s0, s64, 31
	v_writelane_b32 v254, s0, 34
	s_ashr_i32 s0, s48, 31
	v_writelane_b32 v254, s0, 35
	s_sub_i32 s0, 0, s1
	v_readfirstlane_b32 s45, v33
	s_mul_i32 s0, s0, s45
	s_mul_hi_u32 s0, s45, s0
	s_add_i32 s0, s45, s0
	.loc	1 65 22                         ; fp8_utils_aot.py:65:22
	s_mul_i32 s45, s51, s12
	v_add_u32_e32 v36, s45, v35
	v_ashrrev_i32_e32 v37, 31, v36
	v_accvgpr_write_b32 a55, v37
	s_mul_i32 s45, s51, s52
	v_accvgpr_write_b32 a54, v36
	v_add_u32_e32 v36, s45, v35
	v_ashrrev_i32_e32 v37, 31, v36
	v_accvgpr_write_b32 a57, v37
	s_mul_i32 s45, s51, s53
	v_accvgpr_write_b32 a56, v36
	;; [unrolled: 5-line block ×31, first 2 shown]
	v_add_u32_e32 v36, s45, v35
	v_ashrrev_i32_e32 v37, 31, v36
	v_accvgpr_write_b32 a117, v37
	s_mul_i32 s45, s51, s88
	v_writelane_b32 v254, s0, 36
	v_accvgpr_write_b32 a116, v36
	v_add_u32_e32 v36, s45, v35
	v_writelane_b32 v254, s12, 37
	v_ashrrev_i32_e32 v37, 31, v36
	v_writelane_b32 v254, s52, 38
	v_accvgpr_write_b32 a119, v37
	s_mul_i32 s45, s51, s87
	v_writelane_b32 v254, s53, 39
	v_accvgpr_write_b32 a118, v36
	v_add_u32_e32 v36, s45, v35
	v_writelane_b32 v254, s54, 40
	v_ashrrev_i32_e32 v37, 31, v36
	v_writelane_b32 v254, s55, 41
	;; [unrolled: 8-line block ×9, first 2 shown]
	v_accvgpr_write_b32 a135, v37
	s_mul_i32 s45, s51, s79
	v_writelane_b32 v254, s94, 63
	v_accvgpr_write_b32 a134, v36
	v_add_u32_e32 v36, s45, v35
	v_ashrrev_i32_e32 v37, 31, v36
	v_readlane_b32 s0, v254, 26
	v_accvgpr_write_b32 a137, v37
	s_mul_i32 s45, s51, s0
	v_accvgpr_write_b32 a136, v36
	v_add_u32_e32 v36, s45, v35
	v_ashrrev_i32_e32 v37, 31, v36
	v_readlane_b32 s0, v254, 25
	v_accvgpr_write_b32 a139, v37
	s_mul_i32 s45, s51, s0
	;; [unrolled: 6-line block ×20, first 2 shown]
	v_readlane_b32 s12, v254, 6
	v_xor_b32_e32 v1, s15, v1
	v_bfe_i32 v4, v0, 4, 1
	v_accvgpr_write_b32 a174, v36
	s_mov_b32 s0, s7
	v_add_u32_e32 v36, s45, v35
	s_mov_b32 s7, s12
	s_mul_i32 s45, s51, s12
	v_and_b32_e32 v0, 63, v0
	s_and_b32 s12, s60, 64
	v_lshl_or_b32 v9, v189, 7, v1
	v_lshrrev_b32_e32 v1, 3, v34
	v_add_u32_e32 v34, s45, v35
	v_or_b32_e32 v0, s12, v0
	v_ashrrev_i32_e32 v35, 31, v34
	v_and_b32_e32 v0, 0xffff, v0
	.loc	1 57 37                         ; fp8_utils_aot.py:57:37
	s_mul_i32 s8, s8, s49
	v_accvgpr_write_b32 a179, v35
	.loc	1 65 22                         ; fp8_utils_aot.py:65:22
	v_mul_lo_u32 v0, s50, v0
	v_accvgpr_write_b32 a178, v34
	v_add_u32_e32 v34, s8, v0
	v_ashrrev_i32_e32 v35, 31, v34
	.loc	1 57 37                         ; fp8_utils_aot.py:57:37
	s_mul_i32 s9, s9, s49
	v_accvgpr_write_b32 a181, v35
	v_accvgpr_write_b32 a180, v34
	.loc	1 65 22                         ; fp8_utils_aot.py:65:22
	v_add_u32_e32 v34, s9, v0
	v_ashrrev_i32_e32 v35, 31, v34
	.loc	1 57 37                         ; fp8_utils_aot.py:57:37
	s_mul_i32 s10, s10, s49
	v_accvgpr_write_b32 a183, v35
	v_accvgpr_write_b32 a182, v34
	.loc	1 65 22                         ; fp8_utils_aot.py:65:22
	;; [unrolled: 7-line block ×26, first 2 shown]
	v_add_u32_e32 v34, s39, v0
	v_ashrrev_i32_e32 v35, 31, v34
	.loc	1 57 37                         ; fp8_utils_aot.py:57:37
	s_mul_i32 s40, s40, s49
	v_accvgpr_write_b32 a233, v35
                                        ; implicit-def: $vgpr255 : SGPR spill to VGPR lane
	v_accvgpr_write_b32 a232, v34
	.loc	1 65 22                         ; fp8_utils_aot.py:65:22
	v_add_u32_e32 v34, s40, v0
	v_writelane_b32 v255, s93, 0
	v_ashrrev_i32_e32 v35, 31, v34
	.loc	1 57 37                         ; fp8_utils_aot.py:57:37
	s_mul_i32 s41, s41, s49
	v_writelane_b32 v255, s92, 1
	v_accvgpr_write_b32 a235, v35
	v_writelane_b32 v255, s91, 2
	v_accvgpr_write_b32 a234, v34
	.loc	1 65 22                         ; fp8_utils_aot.py:65:22
	v_add_u32_e32 v34, s41, v0
	v_writelane_b32 v255, s90, 3
	v_ashrrev_i32_e32 v35, 31, v34
	.loc	1 57 37                         ; fp8_utils_aot.py:57:37
	s_mul_i32 s42, s42, s49
	v_writelane_b32 v255, s89, 4
	v_accvgpr_write_b32 a237, v35
	v_writelane_b32 v255, s88, 5
	;; [unrolled: 10-line block ×3, first 2 shown]
	v_accvgpr_write_b32 a238, v34
	.loc	1 65 22                         ; fp8_utils_aot.py:65:22
	v_add_u32_e32 v34, s43, v0
	v_and_b32_e32 v4, 0x804, v4
	v_writelane_b32 v255, s84, 9
	v_ashrrev_i32_e32 v35, 31, v34
	.loc	1 57 37                         ; fp8_utils_aot.py:57:37
	s_mul_i32 s44, s44, s49
	v_and_b32_e32 v1, 28, v1
	v_xor_b32_e32 v3, v3, v4
	v_writelane_b32 v255, s83, 10
	v_accvgpr_write_b32 a241, v35
	v_xor_b32_e32 v1, v3, v1
	v_writelane_b32 v255, s82, 11
	v_accvgpr_write_b32 a240, v34
	.loc	1 65 22                         ; fp8_utils_aot.py:65:22
	v_add_u32_e32 v34, s44, v0
	v_lshl_or_b32 v1, v2, 7, v1
	v_writelane_b32 v255, s81, 12
	v_ashrrev_i32_e32 v37, 31, v36
	v_ashrrev_i32_e32 v35, 31, v34
	v_accvgpr_write_b32 a20, v50
	v_xor_b32_e32 v26, 8, v25
	v_xor_b32_e32 v27, 16, v25
	;; [unrolled: 1-line block ×28, first 2 shown]
	v_writelane_b32 v255, s80, 13
	v_accvgpr_write_b32 a177, v37
	v_accvgpr_write_b32 a243, v35
	v_mov_b32_e32 v196, 0
	v_accvgpr_write_b32 a21, v51
	v_writelane_b32 v255, s79, 14
	v_accvgpr_write_b32 a176, v36
	v_accvgpr_write_b32 a242, v34
	v_add_u32_e32 v190, 0, v25
	v_add_u32_e32 v191, 0, v26
	;; [unrolled: 1-line block ×16, first 2 shown]
	s_mov_b32 s12, 0xc0c0004
	v_add_u32_e32 v218, 0, v9
	v_add_u32_e32 v219, 0, v10
	;; [unrolled: 1-line block ×16, first 2 shown]
	s_mov_b32 s13, 0x5040100
	v_mov_b32_e32 v244, 0x7e00
	v_mov_b32_e32 v245, 0x1800
	;; [unrolled: 1-line block ×41, first 2 shown]
	s_branch .LBB0_4
.LBB0_2:                                ;   in Loop: Header=BB0_4 Depth=1
	.loc	1 0 22 is_stmt 0                ; fp8_utils_aot.py:0:22
	v_accvgpr_read_b32 v89, a55
	v_accvgpr_read_b32 v88, a54
	.loc	1 66 59 is_stmt 1               ; fp8_utils_aot.py:66:59
	v_lshl_add_u64 v[88:89], s[4:5], 0, v[88:89]
	.loc	1 67 20                         ; fp8_utils_aot.py:67:20
	global_load_ubyte v90, v[88:89], off
.LBB0_3:                                ;   in Loop: Header=BB0_4 Depth=1
	s_waitcnt vmcnt(0)
	v_lshlrev_b16_e32 v12, 8, v12
	v_or_b32_e32 v11, v11, v12
	v_and_b32_e32 v11, 0xffff, v11
	v_perm_b32 v12, v13, v14, s12
	v_lshl_or_b32 v11, v12, 16, v11
	v_lshlrev_b16_e32 v12, 8, v45
	v_or_b32_e32 v12, v44, v12
	v_and_b32_e32 v12, 0xffff, v12
	v_perm_b32 v13, v46, v47, s12
	v_lshl_or_b32 v12, v13, 16, v12
	s_waitcnt lgkmcnt(0)
	s_barrier
	ds_write2_b32 v218, v11, v12 offset1:16
	v_lshlrev_b16_e32 v11, 8, v16
	v_or_b32_e32 v11, v15, v11
	v_and_b32_e32 v11, 0xffff, v11
	v_perm_b32 v12, v17, v18, s12
	v_lshl_or_b32 v11, v12, 16, v11
	v_lshlrev_b16_e32 v12, 8, v49
	v_or_b32_e32 v12, v48, v12
	v_and_b32_e32 v12, 0xffff, v12
	v_perm_b32 v13, v50, v51, s12
	v_lshl_or_b32 v12, v13, 16, v12
	ds_write2_b32 v219, v11, v12 offset1:16
	v_lshlrev_b16_e32 v11, 8, v21
	v_or_b32_e32 v11, v20, v11
	v_and_b32_e32 v11, 0xffff, v11
	v_perm_b32 v12, v22, v23, s12
	v_lshl_or_b32 v11, v12, 16, v11
	v_lshlrev_b16_e32 v12, 8, v53
	v_or_b32_e32 v12, v52, v12
	v_and_b32_e32 v12, 0xffff, v12
	v_perm_b32 v13, v54, v55, s12
	v_lshl_or_b32 v12, v13, 16, v12
	;; [unrolled: 11-line block ×5, first 2 shown]
	.loc	1 70 29                         ; fp8_utils_aot.py:70:29
	s_ashr_i32 s8, s98, 31
	v_readlane_b32 s9, v254, 35
	.loc	1 67 20                         ; fp8_utils_aot.py:67:20
	ds_write2_b32 v225, v11, v12 offset1:16
	v_lshlrev_b16_e32 v11, 8, v37
	.loc	1 70 29                         ; fp8_utils_aot.py:70:29
	s_xor_b32 s8, s8, s9
	s_abs_i32 s9, s98
	v_readlane_b32 s10, v254, 36
	.loc	1 67 20                         ; fp8_utils_aot.py:67:20
	v_or_b32_e32 v11, v36, v11
	.loc	1 70 29                         ; fp8_utils_aot.py:70:29
	s_mul_hi_u32 s10, s9, s10
	.loc	1 67 20                         ; fp8_utils_aot.py:67:20
	v_and_b32_e32 v11, 0xffff, v11
	v_perm_b32 v12, v38, v39, s12
	.loc	1 70 29                         ; fp8_utils_aot.py:70:29
	s_mul_i32 s11, s10, s1
	.loc	1 67 20                         ; fp8_utils_aot.py:67:20
	v_lshl_or_b32 v11, v12, 16, v11
	v_lshlrev_b16_e32 v12, 8, v75
	.loc	1 70 29                         ; fp8_utils_aot.py:70:29
	s_sub_i32 s9, s9, s11
	.loc	1 67 20                         ; fp8_utils_aot.py:67:20
	v_or_b32_e32 v12, v74, v12
	.loc	1 70 29                         ; fp8_utils_aot.py:70:29
	s_add_i32 s11, s10, 1
	s_sub_i32 s16, s9, s1
	.loc	1 67 20                         ; fp8_utils_aot.py:67:20
	v_and_b32_e32 v12, 0xffff, v12
	v_perm_b32 v13, v78, v79, s12
	.loc	1 70 29                         ; fp8_utils_aot.py:70:29
	s_cmp_ge_u32 s9, s1
	.loc	1 67 20                         ; fp8_utils_aot.py:67:20
	v_lshl_or_b32 v12, v13, 16, v12
	.loc	1 70 29                         ; fp8_utils_aot.py:70:29
	s_cselect_b32 s10, s11, s10
	.loc	1 67 20                         ; fp8_utils_aot.py:67:20
	ds_write2_b32 v226, v11, v12 offset1:16
	v_lshlrev_b16_e32 v11, 8, v41
	.loc	1 70 29                         ; fp8_utils_aot.py:70:29
	s_cselect_b32 s9, s16, s9
	s_add_i32 s11, s10, 1
	.loc	1 67 20                         ; fp8_utils_aot.py:67:20
	v_or_b32_e32 v11, v40, v11
	.loc	1 70 29                         ; fp8_utils_aot.py:70:29
	s_cmp_ge_u32 s9, s1
	.loc	1 67 20                         ; fp8_utils_aot.py:67:20
	v_and_b32_e32 v11, 0xffff, v11
	v_perm_b32 v12, v42, v43, s12
	.loc	1 70 29                         ; fp8_utils_aot.py:70:29
	s_cselect_b32 s9, s11, s10
	.loc	1 67 20                         ; fp8_utils_aot.py:67:20
	v_lshl_or_b32 v11, v12, 16, v11
	v_lshlrev_b16_e32 v12, 8, v81
	.loc	1 70 29                         ; fp8_utils_aot.py:70:29
	s_xor_b32 s9, s9, s8
	.loc	1 67 20                         ; fp8_utils_aot.py:67:20
	v_or_b32_e32 v12, v80, v12
	.loc	1 70 29                         ; fp8_utils_aot.py:70:29
	s_sub_i32 s99, s9, s8
	v_readlane_b32 s8, v254, 27
	.loc	1 67 20                         ; fp8_utils_aot.py:67:20
	v_and_b32_e32 v12, 0xffff, v12
	v_perm_b32 v13, v86, v90, s12
	v_readlane_b32 s10, v254, 29
	v_lshl_or_b32 v12, v13, 16, v12
	v_readlane_b32 s9, v254, 28
	.loc	1 72 42                         ; fp8_utils_aot.py:72:42
	s_mul_i32 s8, s99, s10
	.loc	1 67 20                         ; fp8_utils_aot.py:67:20
	ds_write2_b32 v227, v11, v12 offset1:16
	.loc	1 72 32                         ; fp8_utils_aot.py:72:32
	s_ashr_i32 s9, s8, 31
	v_accvgpr_read_b32 v12, a22
	v_accvgpr_read_b32 v14, a24
	s_lshl_b64 s[8:9], s[8:9], 2
	v_accvgpr_read_b32 v13, a23
	v_accvgpr_read_b32 v15, a25
	;; [unrolled: 1-line block ×15, first 2 shown]
	v_lshrrev_b32_e32 v91, 8, v8
	v_lshl_add_u64 v[12:13], v[12:13], 0, s[8:9]
	v_lshl_add_u64 v[14:15], v[14:15], 0, s[8:9]
	v_accvgpr_read_b32 v17, a27
	v_accvgpr_read_b32 v21, a29
	;; [unrolled: 1-line block ×13, first 2 shown]
	.loc	1 67 20                         ; fp8_utils_aot.py:67:20
	s_waitcnt lgkmcnt(0)
	s_barrier
	.loc	1 72 32                         ; fp8_utils_aot.py:72:32
	v_lshl_add_u64 v[16:17], v[16:17], 0, s[8:9]
	v_lshl_add_u64 v[20:21], v[20:21], 0, s[8:9]
	;; [unrolled: 1-line block ×14, first 2 shown]
	.loc	1 72 22 is_stmt 0               ; fp8_utils_aot.py:72:22
	global_load_dword v108, v[12:13], off
	global_load_dword v109, v[14:15], off
	;; [unrolled: 1-line block ×16, first 2 shown]
	.loc	1 66 20 is_stmt 1               ; fp8_utils_aot.py:66:20
	v_lshlrev_b16_e32 v14, 7, v91
	v_lshlrev_b16_e32 v12, 7, v8
	v_and_b32_e32 v14, 0x3f80, v14
	v_and_b32_e32 v16, 0x7f, v91
	;; [unrolled: 1-line block ×4, first 2 shown]
	v_add_u16_e32 v14, 0x2000, v14
	v_cmp_ne_u16_e32 vcc, s33, v16
	v_add_u16_e32 v13, 0x2000, v13
	v_lshlrev_b16_sdwa v18, v71, v8 dst_sel:DWORD dst_unused:UNUSED_PAD src0_sel:DWORD src1_sel:BYTE_3
	v_cndmask_b32_e32 v14, v244, v14, vcc
	v_cmp_ne_u16_e32 vcc, s33, v15
	v_lshlrev_b16_e32 v11, 8, v8
	v_lshlrev_b16_sdwa v24, v70, v8 dst_sel:DWORD dst_unused:UNUSED_PAD src0_sel:DWORD src1_sel:WORD_1
	v_cndmask_b32_e32 v13, v244, v13, vcc
	v_cmp_ne_u16_e32 vcc, 0, v16
	v_and_b32_sdwa v17, v8, s33 dst_sel:DWORD dst_unused:UNUSED_PAD src0_sel:WORD_1 src1_sel:DWORD
	v_and_b32_e32 v18, 0x3f80, v18
	v_cndmask_b32_e32 v14, 0, v14, vcc
	v_cmp_ne_u16_e32 vcc, 0, v15
	v_add_u16_e32 v18, 0x2000, v18
	v_lshrrev_b32_e32 v92, 8, v6
	v_cndmask_b32_e32 v13, 0, v13, vcc
	v_cmp_ne_u16_e32 vcc, 1, v16
	v_lshlrev_b16_e32 v21, 7, v92
	v_and_b32_e32 v21, 0x3f80, v21
	v_cndmask_b32_e32 v14, v245, v14, vcc
	v_cmp_ne_u16_e32 vcc, 1, v15
	v_and_b32_e32 v22, 0x7f, v92
	v_and_b32_e32 v20, 0x7f, v6
	v_cndmask_b32_e32 v13, v245, v13, vcc
	v_cmp_ne_u16_e32 vcc, 2, v16
	v_add_u16_e32 v21, 0x2000, v21
	v_lshlrev_b16_sdwa v27, v71, v6 dst_sel:DWORD dst_unused:UNUSED_PAD src0_sel:DWORD src1_sel:BYTE_3
	v_cndmask_b32_e32 v14, v246, v14, vcc
	v_cmp_ne_u16_e32 vcc, 2, v15
	v_and_b32_sdwa v26, v6, s33 dst_sel:DWORD dst_unused:UNUSED_PAD src0_sel:WORD_1 src1_sel:DWORD
	v_and_b32_e32 v27, 0x3f80, v27
	v_cndmask_b32_e32 v13, v246, v13, vcc
	v_cmp_ne_u16_e32 vcc, 3, v16
	v_add_u16_e32 v27, 0x2000, v27
	v_lshrrev_b32_e32 v93, 8, v4
	v_cndmask_b32_e32 v14, v247, v14, vcc
	v_cmp_ne_u16_e32 vcc, 3, v15
	v_lshlrev_b16_e32 v28, 7, v93
	v_and_b32_e32 v28, 0x3f80, v28
	v_cndmask_b32_e32 v13, v247, v13, vcc
	v_cmp_ne_u16_e32 vcc, 4, v16
	v_and_b32_e32 v29, 0x7f, v93
	v_add_u16_e32 v28, 0x2000, v28
	v_cndmask_b32_e32 v14, v252, v14, vcc
	v_cmp_ne_u16_e32 vcc, 4, v15
	v_lshlrev_b16_e32 v150, 8, v4
	v_lshlrev_b16_sdwa v40, v70, v4 dst_sel:DWORD dst_unused:UNUSED_PAD src0_sel:DWORD src1_sel:WORD_1
	v_cndmask_b32_e32 v13, v252, v13, vcc
	v_cmp_ne_u16_e32 vcc, 5, v16
	v_lshlrev_b16_sdwa v41, v70, v4 dst_sel:DWORD dst_unused:UNUSED_PAD src0_sel:DWORD src1_sel:BYTE_3
	v_lshrrev_b32_e32 v89, 8, v2
	v_cndmask_b32_e32 v14, v253, v14, vcc
	v_cmp_ne_u16_e32 vcc, 5, v15
	v_lshrrev_b32_e32 v88, 8, v0
	v_lshlrev_b16_e32 v97, 8, v2
	v_cndmask_b32_e32 v13, v253, v13, vcc
	v_cmp_ne_u16_e32 vcc, 6, v16
	v_lshlrev_b16_e32 v99, 7, v2
	v_and_b32_e32 v98, 0x7f, v2
	v_cndmask_b32_e32 v14, v68, v14, vcc
	v_cmp_ne_u16_e32 vcc, 6, v15
	v_lshlrev_b16_sdwa v32, v70, v2 dst_sel:DWORD dst_unused:UNUSED_PAD src0_sel:DWORD src1_sel:WORD_1
	v_lshlrev_b16_sdwa v37, v71, v2 dst_sel:DWORD dst_unused:UNUSED_PAD src0_sel:DWORD src1_sel:WORD_1
	v_cndmask_b32_e32 v13, v68, v13, vcc
	v_cmp_ne_u16_e32 vcc, 7, v16
	v_lshlrev_b16_sdwa v16, v70, v8 dst_sel:DWORD dst_unused:UNUSED_PAD src0_sel:DWORD src1_sel:BYTE_3
	v_and_b32_sdwa v34, v2, s33 dst_sel:DWORD dst_unused:UNUSED_PAD src0_sel:WORD_1 src1_sel:DWORD
	v_cndmask_b32_e32 v14, v69, v14, vcc
	v_cmp_ne_u16_e32 vcc, 7, v15
	v_lshlrev_b16_sdwa v102, v70, v2 dst_sel:DWORD dst_unused:UNUSED_PAD src0_sel:DWORD src1_sel:BYTE_3
	v_lshlrev_b16_sdwa v33, v71, v2 dst_sel:DWORD dst_unused:UNUSED_PAD src0_sel:DWORD src1_sel:BYTE_3
	v_cndmask_b32_e32 v15, v69, v13, vcc
	v_lshlrev_b16_sdwa v13, v71, v8 dst_sel:DWORD dst_unused:UNUSED_PAD src0_sel:DWORD src1_sel:WORD_1
	v_and_b32_sdwa v8, v8, s33 dst_sel:DWORD dst_unused:UNUSED_PAD src0_sel:BYTE_3 src1_sel:DWORD
	v_and_b32_e32 v13, 0x3f80, v13
	v_cmp_ne_u16_e32 vcc, s33, v8
	v_add_u16_e32 v13, 0x2000, v13
	v_and_b32_sdwa v105, v2, s33 dst_sel:DWORD dst_unused:UNUSED_PAD src0_sel:BYTE_3 src1_sel:DWORD
	v_cndmask_b32_e32 v18, v244, v18, vcc
	v_cmp_ne_u16_e32 vcc, s33, v17
	v_lshlrev_b16_e32 v2, 7, v0
	v_and_b32_e32 v2, 0x3f80, v2
	v_cndmask_b32_e32 v13, v244, v13, vcc
	v_cmp_ne_u16_e32 vcc, 0, v8
	v_add_u16_e32 v2, 0x2000, v2
	v_lshlrev_b16_e32 v96, 8, v0
	v_cndmask_b32_e32 v18, 0, v18, vcc
	v_cmp_ne_u16_e32 vcc, 0, v17
	v_lshlrev_b16_sdwa v103, v70, v0 dst_sel:DWORD dst_unused:UNUSED_PAD src0_sel:DWORD src1_sel:WORD_1
	v_lshlrev_b16_sdwa v104, v70, v0 dst_sel:DWORD dst_unused:UNUSED_PAD src0_sel:DWORD src1_sel:BYTE_3
	v_cndmask_b32_e32 v13, 0, v13, vcc
	v_cmp_ne_u16_e32 vcc, 1, v8
	v_lshrrev_b32_e32 v87, 8, v146
	v_lshrrev_b32_e32 v160, 8, v9
	v_cndmask_b32_e32 v18, v245, v18, vcc
	v_cmp_ne_u16_e32 vcc, 1, v17
	v_lshlrev_b16_e32 v161, 8, v9
	v_lshlrev_b16_sdwa v75, v70, v9 dst_sel:DWORD dst_unused:UNUSED_PAD src0_sel:DWORD src1_sel:WORD_1
	v_cndmask_b32_e32 v13, v245, v13, vcc
	v_cmp_ne_u16_e32 vcc, 2, v8
	v_lshlrev_b16_sdwa v73, v70, v9 dst_sel:DWORD dst_unused:UNUSED_PAD src0_sel:DWORD src1_sel:BYTE_3
	v_lshrrev_b32_e32 v162, 8, v7
	v_cndmask_b32_e32 v18, v246, v18, vcc
	v_cmp_ne_u16_e32 vcc, 2, v17
	v_lshlrev_b16_e32 v163, 8, v7
	v_lshlrev_b16_sdwa v183, v70, v7 dst_sel:DWORD dst_unused:UNUSED_PAD src0_sel:DWORD src1_sel:WORD_1
	v_cndmask_b32_e32 v13, v246, v13, vcc
	v_cmp_ne_u16_e32 vcc, 3, v8
	v_lshlrev_b16_sdwa v184, v70, v7 dst_sel:DWORD dst_unused:UNUSED_PAD src0_sel:DWORD src1_sel:BYTE_3
	;; [unrolled: 8-line block ×3, first 2 shown]
	v_readlane_b32 s11, v254, 30
	v_cndmask_b32_e32 v18, v252, v18, vcc
	v_cmp_ne_u16_e32 vcc, 4, v17
	v_lshrrev_b32_e32 v159, 8, v1
	v_lshlrev_b16_e32 v169, 8, v1
	v_cndmask_b32_e32 v13, v252, v13, vcc
	v_cmp_ne_u16_e32 vcc, 5, v8
	v_lshlrev_b16_sdwa v171, v70, v1 dst_sel:DWORD dst_unused:UNUSED_PAD src0_sel:DWORD src1_sel:WORD_1
	v_and_b32_sdwa v148, v1, s33 dst_sel:DWORD dst_unused:UNUSED_PAD src0_sel:WORD_1 src1_sel:DWORD
	v_cndmask_b32_e32 v18, v253, v18, vcc
	v_cmp_ne_u16_e32 vcc, 5, v17
	v_lshlrev_b16_sdwa v170, v70, v1 dst_sel:DWORD dst_unused:UNUSED_PAD src0_sel:DWORD src1_sel:BYTE_3
	v_lshrrev_b32_e32 v19, 8, v136
	v_cndmask_b32_e32 v13, v253, v13, vcc
	v_cmp_ne_u16_e32 vcc, 6, v8
	v_lshrrev_b32_e32 v166, 8, v3
	v_lshlrev_b16_e32 v167, 8, v3
	v_cndmask_b32_e32 v18, v68, v18, vcc
	v_cmp_ne_u16_e32 vcc, 6, v17
	v_lshlrev_b16_sdwa v177, v70, v3 dst_sel:DWORD dst_unused:UNUSED_PAD src0_sel:DWORD src1_sel:WORD_1
	v_lshlrev_b16_sdwa v179, v71, v3 dst_sel:DWORD dst_unused:UNUSED_PAD src0_sel:DWORD src1_sel:WORD_1
	v_cndmask_b32_e32 v13, v68, v13, vcc
	v_cmp_ne_u16_e32 vcc, 7, v8
	v_lshlrev_b16_e32 v8, 8, v6
	v_and_b32_sdwa v178, v3, s33 dst_sel:DWORD dst_unused:UNUSED_PAD src0_sel:WORD_1 src1_sel:DWORD
	v_cndmask_b32_e32 v18, v69, v18, vcc
	v_cmp_ne_u16_e32 vcc, 7, v17
	v_lshlrev_b16_sdwa v174, v70, v3 dst_sel:DWORD dst_unused:UNUSED_PAD src0_sel:DWORD src1_sel:BYTE_3
	v_lshrrev_b32_e32 v10, 8, v134
	v_cndmask_b32_e32 v25, v69, v13, vcc
	v_lshlrev_b16_e32 v13, 7, v6
	v_and_b32_e32 v17, 0x3f80, v13
	v_cmp_ne_u16_e32 vcc, s33, v22
	v_add_u16_e32 v17, 0x2000, v17
	v_lshlrev_b16_e32 v13, 8, v92
	v_cndmask_b32_e32 v21, v244, v21, vcc
	v_cmp_ne_u16_e32 vcc, s33, v20
	.loc	1 67 20                         ; fp8_utils_aot.py:67:20
	ds_read2_b32 v[140:141], v228 offset1:16
	ds_read2_b32 v[142:143], v229 offset1:16
	.loc	1 66 20                         ; fp8_utils_aot.py:66:20
	v_cndmask_b32_e32 v17, v244, v17, vcc
	v_cmp_ne_u16_e32 vcc, 0, v22
	v_lshlrev_b16_e32 v12, 8, v91
	.loc	1 67 20                         ; fp8_utils_aot.py:67:20
	s_waitcnt lgkmcnt(1)
	v_lshlrev_b16_sdwa v46, v71, v140 dst_sel:DWORD dst_unused:UNUSED_PAD src0_sel:DWORD src1_sel:BYTE_3
	.loc	1 66 20                         ; fp8_utils_aot.py:66:20
	v_cndmask_b32_e32 v21, 0, v21, vcc
	v_cmp_ne_u16_e32 vcc, 0, v20
	.loc	1 67 20                         ; fp8_utils_aot.py:67:20
	v_lshlrev_b16_sdwa v31, v71, v140 dst_sel:DWORD dst_unused:UNUSED_PAD src0_sel:DWORD src1_sel:WORD_1
	v_and_b32_e32 v46, 0x3f80, v46
	.loc	1 66 20                         ; fp8_utils_aot.py:66:20
	v_cndmask_b32_e32 v17, 0, v17, vcc
	v_cmp_ne_u16_e32 vcc, 1, v22
	.loc	1 67 20                         ; fp8_utils_aot.py:67:20
	v_and_b32_sdwa v47, v140, s33 dst_sel:DWORD dst_unused:UNUSED_PAD src0_sel:BYTE_3 src1_sel:DWORD
	v_and_b32_e32 v31, 0x3f80, v31
	.loc	1 66 20                         ; fp8_utils_aot.py:66:20
	v_cndmask_b32_e32 v21, v245, v21, vcc
	v_cmp_ne_u16_e32 vcc, 1, v20
	.loc	1 67 20                         ; fp8_utils_aot.py:67:20
	v_add_u16_e32 v46, 0x2000, v46
	v_and_b32_sdwa v48, v140, s33 dst_sel:DWORD dst_unused:UNUSED_PAD src0_sel:WORD_1 src1_sel:DWORD
	.loc	1 66 20                         ; fp8_utils_aot.py:66:20
	v_cndmask_b32_e32 v17, v245, v17, vcc
	v_cmp_ne_u16_e32 vcc, 2, v22
	.loc	1 67 20                         ; fp8_utils_aot.py:67:20
	v_cmp_ne_u16_e64 s[72:73], s33, v47
	v_add_u16_e32 v31, 0x2000, v31
	.loc	1 66 20                         ; fp8_utils_aot.py:66:20
	v_cndmask_b32_e32 v21, v246, v21, vcc
	v_cmp_ne_u16_e32 vcc, 2, v20
	.loc	1 67 20                         ; fp8_utils_aot.py:67:20
	v_cndmask_b32_e64 v46, v244, v46, s[72:73]
	v_cmp_ne_u16_e64 s[72:73], s33, v48
	.loc	1 66 20                         ; fp8_utils_aot.py:66:20
	v_cndmask_b32_e32 v17, v246, v17, vcc
	v_cmp_ne_u16_e32 vcc, 3, v22
	.loc	1 67 20                         ; fp8_utils_aot.py:67:20
	v_and_b32_e32 v49, 0x7f, v140
	v_cndmask_b32_e64 v31, v244, v31, s[72:73]
	.loc	1 66 20                         ; fp8_utils_aot.py:66:20
	v_cndmask_b32_e32 v21, v247, v21, vcc
	v_cmp_ne_u16_e32 vcc, 3, v20
	.loc	1 67 20                         ; fp8_utils_aot.py:67:20
	v_lshlrev_b16_sdwa v44, v70, v140 dst_sel:DWORD dst_unused:UNUSED_PAD src0_sel:DWORD src1_sel:BYTE_3
	v_and_b32_e32 v44, 0xffff8000, v44
	.loc	1 66 20                         ; fp8_utils_aot.py:66:20
	v_cndmask_b32_e32 v17, v247, v17, vcc
	v_cmp_ne_u16_e32 vcc, 4, v22
	.loc	1 67 20                         ; fp8_utils_aot.py:67:20
	v_lshlrev_b16_sdwa v30, v70, v140 dst_sel:DWORD dst_unused:UNUSED_PAD src0_sel:DWORD src1_sel:WORD_1
	v_and_b32_e32 v30, 0xffff8000, v30
	.loc	1 66 20                         ; fp8_utils_aot.py:66:20
	v_cndmask_b32_e32 v21, v252, v21, vcc
	v_cmp_ne_u16_e32 vcc, 4, v20
	.loc	1 74 33                         ; fp8_utils_aot.py:74:33
	v_and_b32_e32 v16, 0xffff8000, v16
	v_or_b32_e32 v16, v18, v16
	.loc	1 66 20                         ; fp8_utils_aot.py:66:20
	v_cndmask_b32_e32 v17, v252, v17, vcc
	v_cmp_ne_u16_e32 vcc, 5, v22
	v_lshlrev_b16_e32 v52, 8, v10
	v_lshlrev_b16_e32 v51, 8, v134
	v_cndmask_b32_e32 v21, v253, v21, vcc
	v_cmp_ne_u16_e32 vcc, 5, v20
	v_lshlrev_b16_sdwa v54, v70, v134 dst_sel:DWORD dst_unused:UNUSED_PAD src0_sel:DWORD src1_sel:BYTE_3
	v_lshrrev_b32_e32 v100, 8, v132
	v_cndmask_b32_e32 v17, v253, v17, vcc
	v_cmp_ne_u16_e32 vcc, 6, v22
	.loc	1 74 33                         ; fp8_utils_aot.py:74:33
	v_and_b32_e32 v40, 0xffff8000, v40
	.loc	1 66 20                         ; fp8_utils_aot.py:66:20
	v_lshlrev_b16_e32 v151, 8, v93
	v_cndmask_b32_e32 v21, v68, v21, vcc
	v_cmp_ne_u16_e32 vcc, 6, v20
	.loc	1 74 33                         ; fp8_utils_aot.py:74:33
	v_and_b32_e32 v41, 0xffff8000, v41
	v_lshrrev_b32_e32 v168, 8, v147
	.loc	1 66 20                         ; fp8_utils_aot.py:66:20
	v_cndmask_b32_e32 v23, v68, v17, vcc
	v_cmp_ne_u16_e32 vcc, 7, v22
	v_lshlrev_b16_sdwa v22, v71, v6 dst_sel:DWORD dst_unused:UNUSED_PAD src0_sel:DWORD src1_sel:WORD_1
	v_and_b32_e32 v37, 0x3f80, v37
	v_cndmask_b32_e32 v17, v69, v21, vcc
	v_cmp_ne_u16_e32 vcc, 7, v20
	v_lshlrev_b16_sdwa v21, v70, v6 dst_sel:DWORD dst_unused:UNUSED_PAD src0_sel:DWORD src1_sel:WORD_1
	v_add_u16_e32 v37, 0x2000, v37
	v_cndmask_b32_e32 v20, v69, v23, vcc
	v_and_b32_e32 v23, 0x3f80, v22
	v_lshlrev_b16_sdwa v22, v70, v6 dst_sel:DWORD dst_unused:UNUSED_PAD src0_sel:DWORD src1_sel:BYTE_3
	v_and_b32_sdwa v6, v6, s33 dst_sel:DWORD dst_unused:UNUSED_PAD src0_sel:BYTE_3 src1_sel:DWORD
	v_cmp_ne_u16_e32 vcc, s33, v6
	v_add_u16_e32 v23, 0x2000, v23
	.loc	1 74 33                         ; fp8_utils_aot.py:74:33
	v_and_b32_e32 v32, 0xffff8000, v32
	.loc	1 66 20                         ; fp8_utils_aot.py:66:20
	v_cndmask_b32_e32 v27, v244, v27, vcc
	v_cmp_ne_u16_e32 vcc, s33, v26
	v_lshlrev_b16_sdwa v55, v70, v147 dst_sel:DWORD dst_unused:UNUSED_PAD src0_sel:DWORD src1_sel:BYTE_3
	v_lshlrev_b16_e32 v90, 8, v146
	v_cndmask_b32_e32 v23, v244, v23, vcc
	v_cmp_ne_u16_e32 vcc, 0, v6
	v_lshlrev_b16_e32 v93, 7, v146
	v_and_b32_e32 v91, 0x7f, v146
	v_cndmask_b32_e32 v27, 0, v27, vcc
	v_cmp_ne_u16_e32 vcc, 0, v26
	v_lshlrev_b16_sdwa v94, v70, v146 dst_sel:DWORD dst_unused:UNUSED_PAD src0_sel:DWORD src1_sel:WORD_1
	v_lshlrev_b16_sdwa v95, v71, v146 dst_sel:DWORD dst_unused:UNUSED_PAD src0_sel:DWORD src1_sel:WORD_1
	v_cndmask_b32_e32 v23, 0, v23, vcc
	v_cmp_ne_u16_e32 vcc, 1, v6
	v_lshlrev_b16_sdwa v60, v70, v146 dst_sel:DWORD dst_unused:UNUSED_PAD src0_sel:DWORD src1_sel:BYTE_3
	v_lshlrev_b16_sdwa v62, v71, v146 dst_sel:DWORD dst_unused:UNUSED_PAD src0_sel:DWORD src1_sel:BYTE_3
	v_cndmask_b32_e32 v27, v245, v27, vcc
	v_cmp_ne_u16_e32 vcc, 1, v26
	v_and_b32_sdwa v61, v146, s33 dst_sel:DWORD dst_unused:UNUSED_PAD src0_sel:BYTE_3 src1_sel:DWORD
	v_lshrrev_b32_e32 v158, 8, v145
	v_cndmask_b32_e32 v23, v245, v23, vcc
	v_cmp_ne_u16_e32 vcc, 2, v6
	v_lshrrev_b32_e32 v154, 8, v144
	v_lshlrev_b16_sdwa v64, v71, v144 dst_sel:DWORD dst_unused:UNUSED_PAD src0_sel:DWORD src1_sel:WORD_1
	v_cndmask_b32_e32 v27, v246, v27, vcc
	v_cmp_ne_u16_e32 vcc, 2, v26
	v_and_b32_sdwa v63, v144, s33 dst_sel:DWORD dst_unused:UNUSED_PAD src0_sel:WORD_1 src1_sel:DWORD
	.loc	1 74 33                         ; fp8_utils_aot.py:74:33
	v_and_b32_e32 v65, 0xffff8000, v161
	.loc	1 66 20                         ; fp8_utils_aot.py:66:20
	v_cndmask_b32_e32 v23, v246, v23, vcc
	v_cmp_ne_u16_e32 vcc, 3, v6
	s_nop 1
	v_cndmask_b32_e32 v27, v247, v27, vcc
	v_cmp_ne_u16_e32 vcc, 3, v26
	s_nop 1
	;; [unrolled: 3-line block ×9, first 2 shown]
	v_cndmask_b32_e32 v6, v69, v27, vcc
	v_cmp_ne_u16_e32 vcc, 7, v26
	v_lshlrev_b16_e32 v26, 7, v4
	v_and_b32_e32 v26, 0x3f80, v26
	v_cndmask_b32_e32 v23, v69, v23, vcc
	v_and_b32_e32 v27, 0x7f, v4
	v_cmp_ne_u16_e32 vcc, s33, v29
	v_add_u16_e32 v26, 0x2000, v26
	s_nop 0
	v_cndmask_b32_e32 v28, v244, v28, vcc
	v_cmp_ne_u16_e32 vcc, s33, v27
	s_nop 1
	v_cndmask_b32_e32 v26, v244, v26, vcc
	v_cmp_ne_u16_e32 vcc, 0, v29
	;; [unrolled: 3-line block ×17, first 2 shown]
	v_lshlrev_b16_sdwa v28, v71, v4 dst_sel:DWORD dst_unused:UNUSED_PAD src0_sel:DWORD src1_sel:BYTE_3
	v_and_b32_sdwa v27, v4, s33 dst_sel:DWORD dst_unused:UNUSED_PAD src0_sel:WORD_1 src1_sel:DWORD
	v_cndmask_b32_e32 v153, v69, v26, vcc
	v_lshlrev_b16_sdwa v26, v71, v4 dst_sel:DWORD dst_unused:UNUSED_PAD src0_sel:DWORD src1_sel:WORD_1
	v_and_b32_e32 v28, 0x3f80, v28
	v_and_b32_sdwa v4, v4, s33 dst_sel:DWORD dst_unused:UNUSED_PAD src0_sel:BYTE_3 src1_sel:DWORD
	v_and_b32_e32 v26, 0x3f80, v26
	v_add_u16_e32 v28, 0x2000, v28
	v_cmp_ne_u16_e32 vcc, s33, v4
	v_add_u16_e32 v26, 0x2000, v26
	s_nop 0
	v_cndmask_b32_e32 v28, v244, v28, vcc
	v_cmp_ne_u16_e32 vcc, s33, v27
	s_nop 1
	v_cndmask_b32_e32 v26, v244, v26, vcc
	v_cmp_ne_u16_e32 vcc, 0, v4
	;; [unrolled: 3-line block ×16, first 2 shown]
	v_lshlrev_b16_e32 v4, 7, v89
	v_and_b32_e32 v4, 0x3f80, v4
	v_cndmask_b32_e32 v42, v69, v28, vcc
	v_cmp_ne_u16_e32 vcc, 7, v27
	v_add_u16_e32 v4, 0x2000, v4
	v_and_b32_e32 v27, 0x7f, v88
	v_cndmask_b32_e32 v43, v69, v26, vcc
	v_and_b32_e32 v26, 0x7f, v89
	v_cmp_ne_u16_e32 vcc, s33, v26
	v_cmp_ne_u16_e64 s[46:47], 7, v26
	v_cmp_ne_u16_e64 s[48:49], 7, v27
	v_cndmask_b32_e32 v4, v244, v4, vcc
	v_cmp_ne_u16_e32 vcc, 0, v26
	.loc	1 74 33                         ; fp8_utils_aot.py:74:33
	v_or_b32_e32 v40, v43, v40
	v_or_b32_e32 v41, v42, v41
	.loc	1 66 20                         ; fp8_utils_aot.py:66:20
	v_cndmask_b32_e32 v4, 0, v4, vcc
	v_cmp_ne_u16_e32 vcc, 1, v26
	s_nop 1
	v_cndmask_b32_e32 v4, v245, v4, vcc
	v_cmp_ne_u16_e32 vcc, 2, v26
	s_nop 1
	;; [unrolled: 3-line block ×5, first 2 shown]
	v_cndmask_b32_e32 v4, v253, v4, vcc
	v_cmp_ne_u16_e32 vcc, 6, v26
	v_lshlrev_b16_e32 v26, 7, v88
	v_and_b32_e32 v26, 0x3f80, v26
	v_cndmask_b32_e32 v101, v68, v4, vcc
	v_and_b32_e32 v4, 0x7f, v0
	v_add_u16_e32 v26, 0x2000, v26
	v_cmp_ne_u16_e32 vcc, s33, v27
	v_cmp_ne_u16_e64 s[50:51], 7, v4
	s_nop 0
	v_cndmask_b32_e32 v26, v244, v26, vcc
	v_cmp_ne_u16_e32 vcc, s33, v4
	s_nop 1
	v_cndmask_b32_e32 v2, v244, v2, vcc
	v_cmp_ne_u16_e32 vcc, 0, v27
	;; [unrolled: 3-line block ×15, first 2 shown]
	v_lshlrev_b16_sdwa v26, v71, v0 dst_sel:DWORD dst_unused:UNUSED_PAD src0_sel:DWORD src1_sel:BYTE_3
	v_and_b32_sdwa v4, v0, s33 dst_sel:DWORD dst_unused:UNUSED_PAD src0_sel:WORD_1 src1_sel:DWORD
	v_cndmask_b32_e32 v36, v68, v2, vcc
	v_lshlrev_b16_sdwa v2, v71, v0 dst_sel:DWORD dst_unused:UNUSED_PAD src0_sel:DWORD src1_sel:WORD_1
	v_and_b32_e32 v26, 0x3f80, v26
	v_and_b32_sdwa v0, v0, s33 dst_sel:DWORD dst_unused:UNUSED_PAD src0_sel:BYTE_3 src1_sel:DWORD
	v_and_b32_e32 v2, 0x3f80, v2
	v_add_u16_e32 v26, 0x2000, v26
	v_cmp_ne_u16_e32 vcc, s33, v0
	v_add_u16_e32 v2, 0x2000, v2
	v_cmp_ne_u16_e64 s[54:55], 7, v0
	v_cndmask_b32_e32 v26, v244, v26, vcc
	v_cmp_ne_u16_e32 vcc, s33, v4
	v_cmp_ne_u16_e64 s[52:53], 7, v4
	s_nop 0
	v_cndmask_b32_e32 v2, v244, v2, vcc
	v_cmp_ne_u16_e32 vcc, 0, v0
	s_nop 1
	v_cndmask_b32_e32 v26, 0, v26, vcc
	v_cmp_ne_u16_e32 vcc, 0, v4
	;; [unrolled: 3-line block ×13, first 2 shown]
	v_lshlrev_b16_e32 v0, 7, v87
	v_and_b32_e32 v0, 0x3f80, v0
	v_cndmask_b32_e32 v39, v68, v26, vcc
	v_cmp_ne_u16_e32 vcc, 6, v4
	v_add_u16_e32 v0, 0x2000, v0
	v_lshlrev_b16_sdwa v4, v71, v138 dst_sel:DWORD dst_unused:UNUSED_PAD src0_sel:DWORD src1_sel:BYTE_3
	v_cndmask_b32_e32 v38, v68, v2, vcc
	v_and_b32_e32 v2, 0x7f, v87
	v_cmp_ne_u16_e32 vcc, s33, v2
	v_cmp_ne_u16_e64 s[44:45], 7, v2
	v_and_b32_e32 v4, 0x3f80, v4
	v_cndmask_b32_e32 v0, v244, v0, vcc
	v_cmp_ne_u16_e32 vcc, 0, v2
	v_and_b32_sdwa v26, v138, s33 dst_sel:DWORD dst_unused:UNUSED_PAD src0_sel:BYTE_3 src1_sel:DWORD
	v_add_u16_e32 v4, 0x2000, v4
	v_cndmask_b32_e32 v0, 0, v0, vcc
	v_cmp_ne_u16_e32 vcc, 1, v2
	v_cmp_ne_u16_e64 s[38:39], 7, v26
	s_nop 0
	v_cndmask_b32_e32 v0, v245, v0, vcc
	v_cmp_ne_u16_e32 vcc, 2, v2
	s_nop 1
	v_cndmask_b32_e32 v0, v246, v0, vcc
	v_cmp_ne_u16_e32 vcc, 3, v2
	;; [unrolled: 3-line block ×5, first 2 shown]
	v_and_b32_e32 v2, 0x7f, v144
	v_cmp_ne_u16_e64 s[40:41], 7, v2
	v_cndmask_b32_e32 v92, v68, v0, vcc
	v_lshlrev_b16_e32 v0, 7, v144
	v_and_b32_e32 v0, 0x3f80, v0
	v_add_u16_e32 v0, 0x2000, v0
	v_cmp_ne_u16_e32 vcc, s33, v2
	s_nop 1
	v_cndmask_b32_e32 v0, v244, v0, vcc
	v_cmp_ne_u16_e32 vcc, 0, v2
	s_nop 1
	v_cndmask_b32_e32 v0, 0, v0, vcc
	;; [unrolled: 3-line block ×7, first 2 shown]
	v_cmp_ne_u16_e32 vcc, 6, v2
	v_and_b32_sdwa v2, v144, s33 dst_sel:DWORD dst_unused:UNUSED_PAD src0_sel:BYTE_3 src1_sel:DWORD
	v_cmp_ne_u16_e64 s[42:43], 7, v2
	v_cndmask_b32_e32 v155, v68, v0, vcc
	v_lshlrev_b16_sdwa v0, v71, v144 dst_sel:DWORD dst_unused:UNUSED_PAD src0_sel:DWORD src1_sel:BYTE_3
	v_and_b32_e32 v0, 0x3f80, v0
	v_add_u16_e32 v0, 0x2000, v0
	v_cmp_ne_u16_e32 vcc, s33, v2
	s_nop 1
	v_cndmask_b32_e32 v0, v244, v0, vcc
	v_cmp_ne_u16_e32 vcc, 0, v2
	s_nop 1
	v_cndmask_b32_e32 v0, 0, v0, vcc
	;; [unrolled: 3-line block ×7, first 2 shown]
	v_cmp_ne_u16_e32 vcc, 6, v2
	v_and_b32_e32 v2, 0x7f, v138
	v_cmp_ne_u16_e64 s[28:29], 7, v2
	v_cndmask_b32_e32 v157, v68, v0, vcc
	v_lshlrev_b16_e32 v0, 7, v138
	v_and_b32_e32 v0, 0x3f80, v0
	v_add_u16_e32 v0, 0x2000, v0
	v_cmp_ne_u16_e32 vcc, s33, v2
	s_nop 1
	v_cndmask_b32_e32 v0, v244, v0, vcc
	v_cmp_ne_u16_e32 vcc, 0, v2
	s_nop 1
	v_cndmask_b32_e32 v0, 0, v0, vcc
	;; [unrolled: 3-line block ×7, first 2 shown]
	v_cmp_ne_u16_e32 vcc, 6, v2
	v_and_b32_sdwa v2, v138, s33 dst_sel:DWORD dst_unused:UNUSED_PAD src0_sel:WORD_1 src1_sel:DWORD
	v_cmp_ne_u16_e64 s[34:35], 7, v2
	v_cndmask_b32_e32 v79, v68, v0, vcc
	v_lshlrev_b16_sdwa v0, v71, v138 dst_sel:DWORD dst_unused:UNUSED_PAD src0_sel:DWORD src1_sel:WORD_1
	v_and_b32_e32 v0, 0x3f80, v0
	v_cmp_ne_u16_e32 vcc, s33, v26
	v_add_u16_e32 v0, 0x2000, v0
	s_nop 0
	v_cndmask_b32_e32 v4, v244, v4, vcc
	v_cmp_ne_u16_e32 vcc, s33, v2
	s_nop 1
	v_cndmask_b32_e32 v0, v244, v0, vcc
	v_cmp_ne_u16_e32 vcc, 0, v26
	;; [unrolled: 3-line block ×15, first 2 shown]
	v_and_b32_e32 v2, 0x7f, v9
	v_lshlrev_b16_sdwa v4, v71, v9 dst_sel:DWORD dst_unused:UNUSED_PAD src0_sel:DWORD src1_sel:BYTE_3
	v_cndmask_b32_e32 v81, v68, v0, vcc
	v_lshlrev_b16_e32 v0, 7, v9
	v_and_b32_e32 v0, 0x3f80, v0
	v_add_u16_e32 v0, 0x2000, v0
	v_cmp_ne_u16_e32 vcc, s33, v2
	v_cmp_ne_u16_e64 s[30:31], 7, v2
	v_and_b32_e32 v4, 0x3f80, v4
	v_cndmask_b32_e32 v0, v244, v0, vcc
	v_cmp_ne_u16_e32 vcc, 0, v2
	v_add_u16_e32 v4, 0x2000, v4
	s_nop 0
	v_cndmask_b32_e32 v0, 0, v0, vcc
	v_cmp_ne_u16_e32 vcc, 1, v2
	s_nop 1
	v_cndmask_b32_e32 v0, v245, v0, vcc
	v_cmp_ne_u16_e32 vcc, 2, v2
	;; [unrolled: 3-line block ×6, first 2 shown]
	v_and_b32_sdwa v2, v9, s33 dst_sel:DWORD dst_unused:UNUSED_PAD src0_sel:WORD_1 src1_sel:DWORD
	v_cmp_ne_u16_e64 s[26:27], 7, v2
	v_cndmask_b32_e32 v80, v68, v0, vcc
	v_lshlrev_b16_sdwa v0, v71, v9 dst_sel:DWORD dst_unused:UNUSED_PAD src0_sel:DWORD src1_sel:WORD_1
	v_and_b32_sdwa v9, v9, s33 dst_sel:DWORD dst_unused:UNUSED_PAD src0_sel:BYTE_3 src1_sel:DWORD
	v_and_b32_e32 v0, 0x3f80, v0
	v_cmp_ne_u16_e32 vcc, s33, v9
	v_add_u16_e32 v0, 0x2000, v0
	v_cmp_ne_u16_e64 s[36:37], 7, v9
	v_cndmask_b32_e32 v4, v244, v4, vcc
	v_cmp_ne_u16_e32 vcc, s33, v2
	s_nop 1
	v_cndmask_b32_e32 v0, v244, v0, vcc
	v_cmp_ne_u16_e32 vcc, 0, v9
	s_nop 1
	;; [unrolled: 3-line block ×14, first 2 shown]
	v_cndmask_b32_e32 v86, v68, v4, vcc
	v_cmp_ne_u16_e32 vcc, 6, v2
	v_and_b32_e32 v2, 0x7f, v7
	v_lshlrev_b16_sdwa v4, v71, v7 dst_sel:DWORD dst_unused:UNUSED_PAD src0_sel:DWORD src1_sel:BYTE_3
	v_cndmask_b32_e32 v78, v68, v0, vcc
	v_lshlrev_b16_e32 v0, 7, v7
	v_and_b32_e32 v0, 0x3f80, v0
	v_add_u16_e32 v0, 0x2000, v0
	v_cmp_ne_u16_e32 vcc, s33, v2
	v_cmp_ne_u16_e64 s[94:95], 7, v2
	v_and_b32_e32 v4, 0x3f80, v4
	v_cndmask_b32_e32 v0, v244, v0, vcc
	v_cmp_ne_u16_e32 vcc, 0, v2
	v_add_u16_e32 v4, 0x2000, v4
	s_nop 0
	v_cndmask_b32_e32 v0, 0, v0, vcc
	v_cmp_ne_u16_e32 vcc, 1, v2
	s_nop 1
	v_cndmask_b32_e32 v0, v245, v0, vcc
	v_cmp_ne_u16_e32 vcc, 2, v2
	;; [unrolled: 3-line block ×6, first 2 shown]
	v_and_b32_sdwa v2, v7, s33 dst_sel:DWORD dst_unused:UNUSED_PAD src0_sel:WORD_1 src1_sel:DWORD
	v_cmp_ne_u16_e64 s[22:23], 7, v2
	v_cndmask_b32_e32 v182, v68, v0, vcc
	v_lshlrev_b16_sdwa v0, v71, v7 dst_sel:DWORD dst_unused:UNUSED_PAD src0_sel:DWORD src1_sel:WORD_1
	v_and_b32_sdwa v7, v7, s33 dst_sel:DWORD dst_unused:UNUSED_PAD src0_sel:BYTE_3 src1_sel:DWORD
	v_and_b32_e32 v0, 0x3f80, v0
	v_cmp_ne_u16_e32 vcc, s33, v7
	v_add_u16_e32 v0, 0x2000, v0
	v_cmp_ne_u16_e64 s[20:21], 7, v7
	v_cndmask_b32_e32 v4, v244, v4, vcc
	v_cmp_ne_u16_e32 vcc, s33, v2
	s_nop 1
	v_cndmask_b32_e32 v0, v244, v0, vcc
	v_cmp_ne_u16_e32 vcc, 0, v7
	s_nop 1
	v_cndmask_b32_e32 v4, 0, v4, vcc
	v_cmp_ne_u16_e32 vcc, 0, v2
	s_nop 1
	v_cndmask_b32_e32 v0, 0, v0, vcc
	v_cmp_ne_u16_e32 vcc, 1, v7
	s_nop 1
	v_cndmask_b32_e32 v4, v245, v4, vcc
	v_cmp_ne_u16_e32 vcc, 1, v2
	s_nop 1
	v_cndmask_b32_e32 v0, v245, v0, vcc
	v_cmp_ne_u16_e32 vcc, 2, v7
	s_nop 1
	v_cndmask_b32_e32 v4, v246, v4, vcc
	v_cmp_ne_u16_e32 vcc, 2, v2
	s_nop 1
	v_cndmask_b32_e32 v0, v246, v0, vcc
	v_cmp_ne_u16_e32 vcc, 3, v7
	s_nop 1
	v_cndmask_b32_e32 v4, v247, v4, vcc
	v_cmp_ne_u16_e32 vcc, 3, v2
	s_nop 1
	v_cndmask_b32_e32 v0, v247, v0, vcc
	v_cmp_ne_u16_e32 vcc, 4, v7
	s_nop 1
	v_cndmask_b32_e32 v4, v252, v4, vcc
	v_cmp_ne_u16_e32 vcc, 4, v2
	s_nop 1
	v_cndmask_b32_e32 v0, v252, v0, vcc
	v_cmp_ne_u16_e32 vcc, 5, v7
	s_nop 1
	v_cndmask_b32_e32 v4, v253, v4, vcc
	v_cmp_ne_u16_e32 vcc, 5, v2
	s_nop 1
	v_cndmask_b32_e32 v0, v253, v0, vcc
	v_cmp_ne_u16_e32 vcc, 6, v7
	v_lshlrev_b16_sdwa v7, v71, v134 dst_sel:DWORD dst_unused:UNUSED_PAD src0_sel:DWORD src1_sel:BYTE_3
	v_and_b32_e32 v9, 0x3f80, v7
	v_cndmask_b32_e32 v187, v68, v4, vcc
	v_cmp_ne_u16_e32 vcc, 6, v2
	v_and_b32_e32 v2, 0x7f, v5
	v_lshlrev_b16_sdwa v4, v71, v5 dst_sel:DWORD dst_unused:UNUSED_PAD src0_sel:DWORD src1_sel:BYTE_3
	v_cndmask_b32_e32 v72, v68, v0, vcc
	v_lshlrev_b16_e32 v0, 7, v5
	v_and_b32_e32 v0, 0x3f80, v0
	v_add_u16_e32 v0, 0x2000, v0
	v_cmp_ne_u16_e32 vcc, s33, v2
	v_cmp_ne_u16_e64 s[16:17], 7, v2
	v_and_b32_e32 v4, 0x3f80, v4
	v_cndmask_b32_e32 v0, v244, v0, vcc
	v_cmp_ne_u16_e32 vcc, 0, v2
	v_add_u16_e32 v4, 0x2000, v4
	v_and_b32_sdwa v7, v134, s33 dst_sel:DWORD dst_unused:UNUSED_PAD src0_sel:BYTE_3 src1_sel:DWORD
	v_cndmask_b32_e32 v0, 0, v0, vcc
	v_cmp_ne_u16_e32 vcc, 1, v2
	v_add_u16_e32 v9, 0x2000, v9
	v_cmp_ne_u16_e64 s[64:65], s33, v7
	v_cndmask_b32_e32 v0, v245, v0, vcc
	v_cmp_ne_u16_e32 vcc, 2, v2
	v_cndmask_b32_e64 v9, v244, v9, s[64:65]
	v_cmp_ne_u16_e64 s[66:67], 7, v7
	v_cndmask_b32_e32 v0, v246, v0, vcc
	v_cmp_ne_u16_e32 vcc, 3, v2
	s_nop 1
	v_cndmask_b32_e32 v0, v247, v0, vcc
	v_cmp_ne_u16_e32 vcc, 4, v2
	s_nop 1
	;; [unrolled: 3-line block ×3, first 2 shown]
	v_cndmask_b32_e32 v0, v253, v0, vcc
	v_cmp_ne_u16_e32 vcc, 6, v2
	v_and_b32_sdwa v2, v5, s33 dst_sel:DWORD dst_unused:UNUSED_PAD src0_sel:WORD_1 src1_sel:DWORD
	v_cmp_ne_u16_e64 s[18:19], 7, v2
	v_cndmask_b32_e32 v185, v68, v0, vcc
	v_lshlrev_b16_sdwa v0, v71, v5 dst_sel:DWORD dst_unused:UNUSED_PAD src0_sel:DWORD src1_sel:WORD_1
	v_and_b32_sdwa v5, v5, s33 dst_sel:DWORD dst_unused:UNUSED_PAD src0_sel:BYTE_3 src1_sel:DWORD
	v_and_b32_e32 v0, 0x3f80, v0
	v_cmp_ne_u16_e32 vcc, s33, v5
	v_add_u16_e32 v0, 0x2000, v0
	v_cmp_ne_u16_e64 s[24:25], 7, v5
	v_cndmask_b32_e32 v4, v244, v4, vcc
	v_cmp_ne_u16_e32 vcc, s33, v2
	s_nop 1
	v_cndmask_b32_e32 v0, v244, v0, vcc
	v_cmp_ne_u16_e32 vcc, 0, v5
	s_nop 1
	;; [unrolled: 3-line block ×13, first 2 shown]
	v_cndmask_b32_e32 v0, v253, v0, vcc
	v_cmp_ne_u16_e32 vcc, 6, v5
	v_and_b32_e32 v5, 0x7f, v10
	v_cmp_ne_u16_e64 s[60:61], s33, v5
	v_cndmask_b32_e32 v74, v68, v4, vcc
	v_cmp_ne_u16_e32 vcc, 6, v2
	v_and_b32_e32 v2, 0x7f, v3
	v_cmp_ne_u16_e64 s[10:11], 7, v2
	v_cndmask_b32_e32 v186, v68, v0, vcc
	v_lshlrev_b16_e32 v0, 7, v3
	v_and_b32_e32 v0, 0x3f80, v0
	v_add_u16_e32 v0, 0x2000, v0
	v_cmp_ne_u16_e32 vcc, s33, v2
	v_and_b32_e32 v4, 0x7f, v134
	v_cmp_ne_u16_e64 s[62:63], 7, v5
	v_cndmask_b32_e32 v0, v244, v0, vcc
	v_cmp_ne_u16_e32 vcc, 0, v2
	v_cndmask_b32_e64 v74, v69, v74, s[24:25]
	s_nop 0
	v_cndmask_b32_e32 v0, 0, v0, vcc
	v_cmp_ne_u16_e32 vcc, 1, v2
	s_nop 1
	v_cndmask_b32_e32 v0, v245, v0, vcc
	v_cmp_ne_u16_e32 vcc, 2, v2
	;; [unrolled: 3-line block ×6, first 2 shown]
	v_and_b32_sdwa v2, v3, s33 dst_sel:DWORD dst_unused:UNUSED_PAD src0_sel:BYTE_3 src1_sel:DWORD
	v_cmp_ne_u16_e64 s[92:93], 7, v2
	v_cndmask_b32_e32 v175, v68, v0, vcc
	v_lshlrev_b16_sdwa v0, v71, v3 dst_sel:DWORD dst_unused:UNUSED_PAD src0_sel:DWORD src1_sel:BYTE_3
	v_and_b32_e32 v0, 0x3f80, v0
	v_add_u16_e32 v0, 0x2000, v0
	v_cmp_ne_u16_e32 vcc, s33, v2
	v_and_b32_e32 v3, 0x7f, v19
	v_cmp_ne_u16_e64 s[56:57], s33, v3
	v_cndmask_b32_e32 v0, v244, v0, vcc
	v_cmp_ne_u16_e32 vcc, 0, v2
	v_cmp_ne_u16_e64 s[70:71], 7, v3
	s_nop 0
	v_cndmask_b32_e32 v0, 0, v0, vcc
	v_cmp_ne_u16_e32 vcc, 1, v2
	s_nop 1
	v_cndmask_b32_e32 v0, v245, v0, vcc
	v_cmp_ne_u16_e32 vcc, 2, v2
	;; [unrolled: 3-line block ×6, first 2 shown]
	v_and_b32_e32 v2, 0x7f, v1
	s_nop 0
	v_cndmask_b32_e32 v176, v68, v0, vcc
	v_lshlrev_b16_e32 v0, 7, v1
	v_and_b32_e32 v0, 0x3f80, v0
	v_add_u16_e32 v0, 0x2000, v0
	v_cmp_ne_u16_e32 vcc, s33, v2
	s_nop 1
	v_cndmask_b32_e32 v0, v244, v0, vcc
	v_cmp_ne_u16_e32 vcc, 0, v2
	s_nop 1
	v_cndmask_b32_e32 v0, 0, v0, vcc
	;; [unrolled: 3-line block ×8, first 2 shown]
	v_cmp_ne_u16_e32 vcc, 7, v2
	v_lshlrev_b16_sdwa v2, v71, v1 dst_sel:DWORD dst_unused:UNUSED_PAD src0_sel:DWORD src1_sel:BYTE_3
	v_lshlrev_b16_sdwa v0, v71, v1 dst_sel:DWORD dst_unused:UNUSED_PAD src0_sel:DWORD src1_sel:WORD_1
	v_and_b32_e32 v2, 0x3f80, v2
	v_and_b32_sdwa v1, v1, s33 dst_sel:DWORD dst_unused:UNUSED_PAD src0_sel:BYTE_3 src1_sel:DWORD
	v_and_b32_e32 v0, 0x3f80, v0
	v_add_u16_e32 v2, 0x2000, v2
	v_cmp_ne_u16_e64 s[8:9], s33, v1
	v_add_u16_e32 v0, 0x2000, v0
	s_nop 0
	v_cndmask_b32_e64 v2, v244, v2, s[8:9]
	v_cmp_ne_u16_e64 s[8:9], s33, v148
	s_nop 1
	v_cndmask_b32_e64 v0, v244, v0, s[8:9]
	v_cmp_ne_u16_e64 s[8:9], 0, v1
	;; [unrolled: 3-line block ×13, first 2 shown]
	v_lshlrev_b16_e32 v2, 7, v19
	v_and_b32_e32 v2, 0x3f80, v2
	v_cndmask_b32_e64 v173, v68, v0, s[8:9]
	v_lshlrev_b16_e32 v0, 7, v136
	v_cmp_ne_u16_e64 s[8:9], 7, v1
	v_and_b32_e32 v0, 0x3f80, v0
	v_and_b32_e32 v1, 0x7f, v136
	v_add_u16_e32 v2, 0x2000, v2
	v_add_u16_e32 v0, 0x2000, v0
	v_cndmask_b32_e64 v2, v244, v2, s[56:57]
	v_cmp_ne_u16_e64 s[56:57], s33, v1
	v_cmp_ne_u16_e64 s[68:69], 7, v1
	s_nop 0
	v_cndmask_b32_e64 v0, v244, v0, s[56:57]
	v_cmp_ne_u16_e64 s[56:57], 0, v3
	s_nop 1
	v_cndmask_b32_e64 v2, 0, v2, s[56:57]
	;; [unrolled: 3-line block ×13, first 2 shown]
	v_cmp_ne_u16_e64 s[56:57], 6, v3
	v_and_b32_sdwa v3, v136, s33 dst_sel:DWORD dst_unused:UNUSED_PAD src0_sel:BYTE_3 src1_sel:DWORD
	v_cmp_ne_u16_e64 s[58:59], 7, v3
	v_cndmask_b32_e64 v29, v68, v2, s[56:57]
	v_cmp_ne_u16_e64 s[56:57], 6, v1
	v_lshlrev_b16_sdwa v1, v71, v136 dst_sel:DWORD dst_unused:UNUSED_PAD src0_sel:DWORD src1_sel:BYTE_3
	v_and_b32_e32 v1, 0x3f80, v1
	v_cndmask_b32_e64 v28, v68, v0, s[56:57]
	v_lshlrev_b16_sdwa v0, v71, v136 dst_sel:DWORD dst_unused:UNUSED_PAD src0_sel:DWORD src1_sel:WORD_1
	v_and_b32_e32 v0, 0x3f80, v0
	v_and_b32_sdwa v2, v136, s33 dst_sel:DWORD dst_unused:UNUSED_PAD src0_sel:WORD_1 src1_sel:DWORD
	v_add_u16_e32 v1, 0x2000, v1
	v_cmp_ne_u16_e64 s[56:57], s33, v3
	v_add_u16_e32 v0, 0x2000, v0
	s_nop 0
	v_cndmask_b32_e64 v1, v244, v1, s[56:57]
	v_cmp_ne_u16_e64 s[56:57], s33, v2
	s_nop 1
	v_cndmask_b32_e64 v0, v244, v0, s[56:57]
	v_cmp_ne_u16_e64 s[56:57], 0, v3
	;; [unrolled: 3-line block ×14, first 2 shown]
	v_lshlrev_b16_e32 v3, 7, v10
	v_and_b32_e32 v3, 0x3f80, v3
	v_cndmask_b32_e64 v1, v68, v1, s[56:57]
	v_cmp_ne_u16_e64 s[56:57], 6, v2
	v_add_u16_e32 v3, 0x2000, v3
	v_cndmask_b32_e64 v3, v244, v3, s[60:61]
	v_cndmask_b32_e64 v0, v68, v0, s[56:57]
	v_cmp_ne_u16_e64 s[56:57], 7, v2
	v_lshlrev_b16_e32 v2, 7, v134
	v_and_b32_e32 v2, 0x3f80, v2
	v_add_u16_e32 v2, 0x2000, v2
	v_cmp_ne_u16_e64 s[60:61], s33, v4
	v_cndmask_b32_e64 v1, v69, v1, s[58:59]
	v_cndmask_b32_e64 v0, v69, v0, s[56:57]
	;; [unrolled: 1-line block ×3, first 2 shown]
	v_cmp_ne_u16_e64 s[60:61], 0, v5
	v_cmp_ne_u16_e64 s[56:57], 5, v148
	s_nop 0
	v_cndmask_b32_e64 v3, 0, v3, s[60:61]
	v_cmp_ne_u16_e64 s[60:61], 0, v4
	s_nop 1
	v_cndmask_b32_e64 v2, 0, v2, s[60:61]
	;; [unrolled: 3-line block ×12, first 2 shown]
	v_cmp_ne_u16_e64 s[60:61], 6, v5
	v_and_b32_sdwa v5, v134, s33 dst_sel:DWORD dst_unused:UNUSED_PAD src0_sel:WORD_1 src1_sel:DWORD
	v_cmp_ne_u16_e64 s[64:65], s33, v5
	v_cndmask_b32_e64 v3, v68, v3, s[60:61]
	v_cmp_ne_u16_e64 s[60:61], 6, v4
	s_nop 1
	v_cndmask_b32_e64 v2, v68, v2, s[60:61]
	v_cmp_ne_u16_e64 s[60:61], 7, v4
	v_lshlrev_b16_sdwa v4, v71, v134 dst_sel:DWORD dst_unused:UNUSED_PAD src0_sel:DWORD src1_sel:WORD_1
	v_and_b32_e32 v4, 0x3f80, v4
	v_add_u16_e32 v4, 0x2000, v4
	v_cndmask_b32_e64 v4, v244, v4, s[64:65]
	v_cmp_ne_u16_e64 s[64:65], 0, v7
	s_nop 1
	v_cndmask_b32_e64 v9, 0, v9, s[64:65]
	v_cmp_ne_u16_e64 s[64:65], 0, v5
	s_nop 1
	;; [unrolled: 3-line block ×12, first 2 shown]
	v_cndmask_b32_e64 v9, v253, v4, s[64:65]
	v_cmp_ne_u16_e64 s[64:65], 6, v7
	.loc	1 67 20                         ; fp8_utils_aot.py:67:20
	v_lshlrev_b16_e32 v7, 8, v140
	v_and_b32_e32 v7, 0xffff8000, v7
	.loc	1 66 20                         ; fp8_utils_aot.py:66:20
	v_cndmask_b32_e64 v4, v68, v26, s[64:65]
	v_cmp_ne_u16_e64 s[64:65], 6, v5
	v_cndmask_b32_e64 v53, v69, v4, s[66:67]
	.loc	1 74 33                         ; fp8_utils_aot.py:74:33
	v_and_b32_e32 v4, 0xffff8000, v22
	.loc	1 66 20                         ; fp8_utils_aot.py:66:20
	v_cndmask_b32_e64 v45, v68, v9, s[64:65]
	v_cmp_ne_u16_e64 s[64:65], 7, v5
	.loc	1 67 20                         ; fp8_utils_aot.py:67:20
	v_lshrrev_b32_e32 v5, 8, v140
	v_lshlrev_b16_e32 v27, 7, v5
	v_lshlrev_b16_e32 v9, 7, v140
	;; [unrolled: 1-line block ×3, first 2 shown]
	v_and_b32_e32 v27, 0x3f80, v27
	v_and_b32_e32 v5, 0x7f, v5
	;; [unrolled: 1-line block ×3, first 2 shown]
	v_add_u16_e32 v27, 0x2000, v27
	v_cmp_ne_u16_e64 s[72:73], s33, v5
	v_add_u16_e32 v9, 0x2000, v9
	v_and_b32_e32 v26, 0xffff8000, v26
	v_cndmask_b32_e64 v27, v244, v27, s[72:73]
	v_cmp_ne_u16_e64 s[72:73], s33, v49
	.loc	1 74 33                         ; fp8_utils_aot.py:74:33
	v_or_b32_e32 v4, v6, v4
	.loc	1 66 20                         ; fp8_utils_aot.py:66:20
	v_cndmask_b32_e64 v45, v69, v45, s[64:65]
	.loc	1 67 20                         ; fp8_utils_aot.py:67:20
	v_cndmask_b32_e64 v9, v244, v9, s[72:73]
	v_cmp_ne_u16_e64 s[72:73], 0, v47
	.loc	1 66 20                         ; fp8_utils_aot.py:66:20
	v_lshlrev_b16_sdwa v140, v70, v145 dst_sel:DWORD dst_unused:UNUSED_PAD src0_sel:DWORD src1_sel:WORD_1
	.loc	1 67 20                         ; fp8_utils_aot.py:67:20
	s_nop 0
	v_cndmask_b32_e64 v46, 0, v46, s[72:73]
	v_cmp_ne_u16_e64 s[72:73], 0, v48
	s_nop 1
	v_cndmask_b32_e64 v31, 0, v31, s[72:73]
	v_cmp_ne_u16_e64 s[72:73], 0, v5
	;; [unrolled: 3-line block ×28, first 2 shown]
	s_waitcnt lgkmcnt(0)
	v_and_b32_sdwa v47, v142, s33 dst_sel:DWORD dst_unused:UNUSED_PAD src0_sel:BYTE_3 src1_sel:DWORD
	v_cndmask_b32_e64 v46, v69, v46, s[72:73]
	v_cmp_ne_u16_e64 s[72:73], 7, v48
	s_nop 1
	v_cndmask_b32_e64 v31, v69, v31, s[72:73]
	v_cmp_ne_u16_e64 s[72:73], 7, v5
	s_nop 1
	;; [unrolled: 3-line block ×3, first 2 shown]
	v_cndmask_b32_e64 v5, v69, v9, s[72:73]
	v_or_b32_e32 v5, v5, v7
	v_or_b32_e32 v7, v27, v26
	;; [unrolled: 1-line block ×3, first 2 shown]
	v_lshlrev_b16_sdwa v46, v71, v142 dst_sel:DWORD dst_unused:UNUSED_PAD src0_sel:DWORD src1_sel:BYTE_3
	v_and_b32_e32 v46, 0x3f80, v46
	v_add_u16_e32 v46, 0x2000, v46
	v_cmp_ne_u16_e64 s[72:73], s33, v47
	v_lshlrev_b16_sdwa v44, v71, v142 dst_sel:DWORD dst_unused:UNUSED_PAD src0_sel:DWORD src1_sel:WORD_1
	v_and_b32_e32 v44, 0x3f80, v44
	v_cndmask_b32_e64 v46, v244, v46, s[72:73]
	v_cmp_ne_u16_e64 s[72:73], 0, v47
	v_add_u16_e32 v44, 0x2000, v44
	v_or_b32_e32 v9, v31, v30
	v_cndmask_b32_e64 v46, 0, v46, s[72:73]
	v_cmp_ne_u16_e64 s[72:73], 1, v47
	v_lshrrev_b32_e32 v30, 8, v142
	v_lshlrev_b16_e32 v31, 7, v30
	v_cndmask_b32_e64 v46, v245, v46, s[72:73]
	v_cmp_ne_u16_e64 s[72:73], 2, v47
	v_and_b32_e32 v31, 0x3f80, v31
	v_add_u16_e32 v31, 0x2000, v31
	v_cndmask_b32_e64 v46, v246, v46, s[72:73]
	v_cmp_ne_u16_e64 s[72:73], 3, v47
	v_lshlrev_b16_e32 v27, 7, v142
	v_and_b32_e32 v27, 0x3f80, v27
	v_cndmask_b32_e64 v46, v247, v46, s[72:73]
	v_cmp_ne_u16_e64 s[72:73], 4, v47
	v_add_u16_e32 v27, 0x2000, v27
	s_nop 0
	v_cndmask_b32_e64 v46, v252, v46, s[72:73]
	v_cmp_ne_u16_e64 s[72:73], 5, v47
	s_nop 1
	v_cndmask_b32_e64 v46, v253, v46, s[72:73]
	v_cmp_ne_u16_e64 s[72:73], 6, v47
	s_nop 1
	v_cndmask_b32_e64 v48, v68, v46, s[72:73]
	v_and_b32_sdwa v46, v142, s33 dst_sel:DWORD dst_unused:UNUSED_PAD src0_sel:WORD_1 src1_sel:DWORD
	v_cmp_ne_u16_e64 s[74:75], s33, v46
	v_cmp_ne_u16_e64 s[72:73], 7, v47
	.loc	1 66 20                         ; fp8_utils_aot.py:66:20
	v_lshlrev_b16_e32 v47, 8, v19
	.loc	1 67 20                         ; fp8_utils_aot.py:67:20
	v_cndmask_b32_e64 v44, v244, v44, s[74:75]
	v_cmp_ne_u16_e64 s[74:75], 0, v46
	v_lshlrev_b16_e32 v19, 8, v30
	v_and_b32_e32 v19, 0xffff8000, v19
	v_cndmask_b32_e64 v44, 0, v44, s[74:75]
	v_cmp_ne_u16_e64 s[74:75], 1, v46
	s_nop 1
	v_cndmask_b32_e64 v44, v245, v44, s[74:75]
	v_cmp_ne_u16_e64 s[74:75], 2, v46
	s_nop 1
	;; [unrolled: 3-line block ×6, first 2 shown]
	v_cndmask_b32_e64 v49, v68, v44, s[74:75]
	v_and_b32_e32 v44, 0x7f, v30
	v_cmp_ne_u16_e64 s[76:77], s33, v44
	v_cmp_ne_u16_e64 s[74:75], 7, v46
	v_cndmask_b32_e64 v30, v69, v48, s[72:73]
	v_cndmask_b32_e64 v31, v244, v31, s[76:77]
	v_cmp_ne_u16_e64 s[76:77], 0, v44
	.loc	1 66 20                         ; fp8_utils_aot.py:66:20
	v_lshlrev_b16_e32 v46, 8, v136
	v_lshlrev_b16_sdwa v48, v70, v136 dst_sel:DWORD dst_unused:UNUSED_PAD src0_sel:DWORD src1_sel:WORD_1
	.loc	1 67 20                         ; fp8_utils_aot.py:67:20
	v_cndmask_b32_e64 v31, 0, v31, s[76:77]
	v_cmp_ne_u16_e64 s[76:77], 1, v44
	.loc	1 74 33                         ; fp8_utils_aot.py:74:33
	v_and_b32_e32 v6, 0xffff8000, v48
	v_and_b32_e32 v48, 0xffff8000, v151
	.loc	1 67 20                         ; fp8_utils_aot.py:67:20
	v_cndmask_b32_e64 v31, v245, v31, s[76:77]
	v_cmp_ne_u16_e64 s[76:77], 2, v44
	.loc	1 74 33                         ; fp8_utils_aot.py:74:33
	v_or_b32_e32 v48, v152, v48
	v_perm_b32 v151, v41, v40, s13
	.loc	1 67 20                         ; fp8_utils_aot.py:67:20
	v_cndmask_b32_e64 v31, v246, v31, s[76:77]
	v_cmp_ne_u16_e64 s[76:77], 3, v44
	s_nop 1
	v_cndmask_b32_e64 v31, v247, v31, s[76:77]
	v_cmp_ne_u16_e64 s[76:77], 4, v44
	s_nop 1
	;; [unrolled: 3-line block ×4, first 2 shown]
	v_cndmask_b32_e64 v50, v68, v31, s[76:77]
	v_and_b32_e32 v31, 0x7f, v142
	v_cmp_ne_u16_e64 s[78:79], s33, v31
	v_cmp_ne_u16_e64 s[76:77], 7, v44
	.loc	1 66 20                         ; fp8_utils_aot.py:66:20
	v_cndmask_b32_e64 v44, v69, v28, s[68:69]
	.loc	1 67 20                         ; fp8_utils_aot.py:67:20
	v_cndmask_b32_e64 v27, v244, v27, s[78:79]
	v_cmp_ne_u16_e64 s[78:79], 0, v31
	v_cndmask_b32_e64 v28, v69, v50, s[76:77]
	v_or_b32_e32 v28, v28, v19
	v_cndmask_b32_e64 v27, 0, v27, s[78:79]
	v_cmp_ne_u16_e64 s[78:79], 1, v31
	v_lshlrev_b16_sdwa v19, v70, v142 dst_sel:DWORD dst_unused:UNUSED_PAD src0_sel:DWORD src1_sel:WORD_1
	v_and_b32_e32 v19, 0xffff8000, v19
	v_cndmask_b32_e64 v27, v245, v27, s[78:79]
	v_cmp_ne_u16_e64 s[78:79], 2, v31
	.loc	1 66 20                         ; fp8_utils_aot.py:66:20
	v_lshlrev_b16_sdwa v50, v70, v134 dst_sel:DWORD dst_unused:UNUSED_PAD src0_sel:DWORD src1_sel:WORD_1
	.loc	1 67 20                         ; fp8_utils_aot.py:67:20
	s_nop 0
	v_cndmask_b32_e64 v27, v246, v27, s[78:79]
	v_cmp_ne_u16_e64 s[78:79], 3, v31
	s_nop 1
	v_cndmask_b32_e64 v27, v247, v27, s[78:79]
	v_cmp_ne_u16_e64 s[78:79], 4, v31
	;; [unrolled: 3-line block ×5, first 2 shown]
	v_lshlrev_b16_e32 v31, 8, v142
	v_and_b32_e32 v31, 0xffff8000, v31
	v_cndmask_b32_e64 v27, v69, v27, s[78:79]
	v_or_b32_e32 v27, v27, v31
	.loc	1 66 20                         ; fp8_utils_aot.py:66:20
	v_cndmask_b32_e64 v31, v69, v29, s[70:71]
	.loc	1 67 20                         ; fp8_utils_aot.py:67:20
	v_cndmask_b32_e64 v29, v69, v49, s[74:75]
	v_or_b32_e32 v29, v29, v19
	v_lshlrev_b16_sdwa v19, v70, v142 dst_sel:DWORD dst_unused:UNUSED_PAD src0_sel:DWORD src1_sel:BYTE_3
	v_and_b32_e32 v19, 0xffff8000, v19
	v_or_b32_e32 v30, v30, v19
	.loc	1 74 33                         ; fp8_utils_aot.py:74:33
	v_and_b32_e32 v19, 0xffff8000, v24
	v_or_b32_e32 v19, v25, v19
	.loc	1 66 20                         ; fp8_utils_aot.py:66:20
	v_cndmask_b32_e64 v25, v69, v3, s[62:63]
	v_cndmask_b32_e64 v49, v69, v2, s[60:61]
	.loc	1 74 33                         ; fp8_utils_aot.py:74:33
	v_and_b32_e32 v2, 0xffff8000, v11
	v_and_b32_e32 v3, 0xffff8000, v12
	v_or_b32_e32 v2, v15, v2
	v_or_b32_e32 v3, v14, v3
	v_perm_b32 v18, v3, v2, s13
	v_and_b32_e32 v2, 0xffff8000, v13
	v_and_b32_e32 v3, 0xffff8000, v8
	v_or_b32_e32 v3, v20, v3
	v_or_b32_e32 v2, v17, v2
	v_perm_b32 v19, v16, v19, s13
	v_perm_b32 v16, v2, v3, s13
	v_and_b32_e32 v2, 0xffff8000, v47
	v_and_b32_e32 v3, 0xffff8000, v46
	v_perm_b32 v47, v26, v9, s13
	v_perm_b32 v46, v7, v5, s13
	v_and_b32_e32 v8, 0xffff8000, v21
	.loc	1 66 20                         ; fp8_utils_aot.py:66:20
	v_lshlrev_b16_sdwa v24, v70, v136 dst_sel:DWORD dst_unused:UNUSED_PAD src0_sel:DWORD src1_sel:BYTE_3
	.loc	1 74 33                         ; fp8_utils_aot.py:74:33
	v_or_b32_e32 v8, v23, v8
	v_perm_b32 v17, v4, v8, s13
	v_and_b32_e32 v4, 0xffff8000, v24
	v_or_b32_e32 v20, v0, v6
	v_or_b32_e32 v21, v1, v4
	;; [unrolled: 1-line block ×4, first 2 shown]
	v_mfma_f32_32x32x8_f16 v[0:15], v[46:47], v[18:19], 0
	v_perm_b32 v59, v30, v29, s13
	v_perm_b32 v58, v28, v27, s13
	;; [unrolled: 1-line block ×3, first 2 shown]
	v_and_b32_e32 v18, 0xffff8000, v52
	v_and_b32_e32 v19, 0xffff8000, v51
	;; [unrolled: 1-line block ×3, first 2 shown]
	v_perm_b32 v56, v23, v22, s13
	v_mfma_f32_32x32x8_f16 v[0:15], v[58:59], v[16:17], v[0:15]
	v_and_b32_e32 v16, 0xffff8000, v50
	v_or_b32_e32 v16, v45, v16
	v_or_b32_e32 v17, v53, v20
	;; [unrolled: 1-line block ×4, first 2 shown]
	v_perm_b32 v44, v18, v19, s13
	v_perm_b32 v45, v17, v16, s13
	v_mfma_f32_32x32x8_f16 v[16:31], v[46:47], v[56:57], 0
	.loc	1 66 20                         ; fp8_utils_aot.py:66:20
	v_cndmask_b32_e64 v46, v253, v149, s[56:57]
	v_cmp_ne_u16_e64 s[56:57], 6, v148
	v_and_b32_e32 v47, 0x7f, v100
	v_cmp_ne_u16_e64 s[58:59], s33, v47
	v_cndmask_b32_e64 v134, v68, v46, s[56:57]
	v_lshlrev_b16_e32 v46, 7, v132
	v_and_b32_e32 v46, 0x3f80, v46
	.loc	1 74 33                         ; fp8_utils_aot.py:74:33
	v_mfma_f32_32x32x8_f16 v[16:31], v[58:59], v[44:45], v[16:31]
	.loc	1 66 20                         ; fp8_utils_aot.py:66:20
	v_lshlrev_b16_e32 v45, 7, v100
	v_and_b32_e32 v45, 0x3f80, v45
	v_and_b32_e32 v44, 0x7f, v132
	v_add_u16_e32 v45, 0x2000, v45
	v_add_u16_e32 v46, 0x2000, v46
	v_cndmask_b32_e64 v45, v244, v45, s[58:59]
	v_cmp_ne_u16_e64 s[58:59], s33, v44
	v_cmp_ne_u16_e64 s[56:57], 7, v148
	.loc	1 67 20                         ; fp8_utils_aot.py:67:20
	ds_read2_b32 v[148:149], v230 offset1:16
	.loc	1 66 20                         ; fp8_utils_aot.py:66:20
	v_cndmask_b32_e64 v46, v244, v46, s[58:59]
	v_cmp_ne_u16_e64 s[58:59], 0, v47
	v_cmp_ne_u16_e64 s[60:61], 7, v44
	v_and_b32_sdwa v59, v146, s33 dst_sel:DWORD dst_unused:UNUSED_PAD src0_sel:WORD_1 src1_sel:DWORD
	v_cndmask_b32_e64 v45, 0, v45, s[58:59]
	v_cmp_ne_u16_e64 s[58:59], 0, v44
	.loc	1 67 20                         ; fp8_utils_aot.py:67:20
	s_waitcnt lgkmcnt(0)
	v_lshrrev_b32_e32 v43, 8, v148
	v_lshlrev_b16_sdwa v40, v71, v148 dst_sel:DWORD dst_unused:UNUSED_PAD src0_sel:DWORD src1_sel:BYTE_3
	.loc	1 66 20                         ; fp8_utils_aot.py:66:20
	v_cndmask_b32_e64 v46, 0, v46, s[58:59]
	v_cmp_ne_u16_e64 s[58:59], 1, v47
	.loc	1 67 20                         ; fp8_utils_aot.py:67:20
	v_and_b32_e32 v40, 0x3f80, v40
	v_add_u16_e32 v40, 0x2000, v40
	.loc	1 66 20                         ; fp8_utils_aot.py:66:20
	v_cndmask_b32_e64 v45, v245, v45, s[58:59]
	v_cmp_ne_u16_e64 s[58:59], 1, v44
	.loc	1 67 20                         ; fp8_utils_aot.py:67:20
	v_lshlrev_b16_sdwa v49, v71, v148 dst_sel:DWORD dst_unused:UNUSED_PAD src0_sel:DWORD src1_sel:WORD_1
	v_and_b32_e32 v49, 0x3f80, v49
	.loc	1 66 20                         ; fp8_utils_aot.py:66:20
	v_cndmask_b32_e64 v46, v245, v46, s[58:59]
	v_cmp_ne_u16_e64 s[58:59], 2, v47
	.loc	1 67 20                         ; fp8_utils_aot.py:67:20
	v_add_u16_e32 v41, 0x2000, v49
	v_lshlrev_b16_e32 v42, 7, v148
	.loc	1 66 20                         ; fp8_utils_aot.py:66:20
	v_cndmask_b32_e64 v45, v246, v45, s[58:59]
	v_cmp_ne_u16_e64 s[58:59], 2, v44
	.loc	1 67 20                         ; fp8_utils_aot.py:67:20
	v_and_b32_e32 v42, 0x3f80, v42
	v_add_u16_e32 v42, 0x2000, v42
	.loc	1 66 20                         ; fp8_utils_aot.py:66:20
	v_cndmask_b32_e64 v46, v246, v46, s[58:59]
	v_cmp_ne_u16_e64 s[58:59], 3, v47
	v_and_b32_sdwa v49, v145, s33 dst_sel:DWORD dst_unused:UNUSED_PAD src0_sel:BYTE_3 src1_sel:DWORD
	v_lshlrev_b16_sdwa v136, v70, v145 dst_sel:DWORD dst_unused:UNUSED_PAD src0_sel:DWORD src1_sel:BYTE_3
	v_cndmask_b32_e64 v45, v247, v45, s[58:59]
	v_cmp_ne_u16_e64 s[58:59], 3, v44
	v_lshlrev_b16_sdwa v53, v70, v139 dst_sel:DWORD dst_unused:UNUSED_PAD src0_sel:DWORD src1_sel:WORD_1
	v_lshlrev_b16_sdwa v51, v70, v139 dst_sel:DWORD dst_unused:UNUSED_PAD src0_sel:DWORD src1_sel:BYTE_3
	v_cndmask_b32_e64 v46, v247, v46, s[58:59]
	v_cmp_ne_u16_e64 s[58:59], 4, v47
	v_cmp_ne_u16_e64 s[80:81], s33, v59
	.loc	1 74 33                         ; fp8_utils_aot.py:74:33
	v_and_b32_e32 v51, 0xffff8000, v51
	.loc	1 66 20                         ; fp8_utils_aot.py:66:20
	v_cndmask_b32_e64 v45, v252, v45, s[58:59]
	v_cmp_ne_u16_e64 s[58:59], 4, v44
	.loc	1 74 33                         ; fp8_utils_aot.py:74:33
	v_and_b32_e32 v53, 0xffff8000, v53
	.loc	1 66 20                         ; fp8_utils_aot.py:66:20
	s_nop 0
	v_cndmask_b32_e64 v46, v252, v46, s[58:59]
	v_cmp_ne_u16_e64 s[58:59], 5, v47
	s_nop 1
	v_cndmask_b32_e64 v45, v253, v45, s[58:59]
	v_cmp_ne_u16_e64 s[58:59], 5, v44
	;; [unrolled: 3-line block ×4, first 2 shown]
	.loc	1 74 33                         ; fp8_utils_aot.py:74:33
	v_and_b32_e32 v44, 0xffff8000, v150
	v_or_b32_e32 v44, v153, v44
	.loc	1 66 20                         ; fp8_utils_aot.py:66:20
	v_cndmask_b32_e64 v46, v68, v46, s[58:59]
	v_cmp_ne_u16_e64 s[58:59], 7, v47
	.loc	1 67 20                         ; fp8_utils_aot.py:67:20
	v_lshlrev_b16_e32 v47, 7, v43
	v_and_b32_e32 v47, 0x3f80, v47
	.loc	1 74 33                         ; fp8_utils_aot.py:74:33
	v_perm_b32 v150, v48, v44, s13
	.loc	1 67 20                         ; fp8_utils_aot.py:67:20
	v_add_u16_e32 v44, 0x2000, v47
	v_and_b32_sdwa v47, v148, s33 dst_sel:DWORD dst_unused:UNUSED_PAD src0_sel:BYTE_3 src1_sel:DWORD
	v_cmp_ne_u16_e64 s[62:63], s33, v47
	.loc	1 66 20                         ; fp8_utils_aot.py:66:20
	v_lshlrev_b16_sdwa v48, v71, v145 dst_sel:DWORD dst_unused:UNUSED_PAD src0_sel:DWORD src1_sel:BYTE_3
	v_and_b32_e32 v48, 0x3f80, v48
	.loc	1 67 20                         ; fp8_utils_aot.py:67:20
	v_cndmask_b32_e64 v40, v244, v40, s[62:63]
	v_cmp_ne_u16_e64 s[62:63], 0, v47
	.loc	1 66 20                         ; fp8_utils_aot.py:66:20
	v_add_u16_e32 v48, 0x2000, v48
	.loc	1 67 20                         ; fp8_utils_aot.py:67:20
	s_nop 0
	v_cndmask_b32_e64 v40, 0, v40, s[62:63]
	v_cmp_ne_u16_e64 s[62:63], 1, v47
	s_nop 1
	v_cndmask_b32_e64 v40, v245, v40, s[62:63]
	v_cmp_ne_u16_e64 s[62:63], 2, v47
	;; [unrolled: 3-line block ×7, first 2 shown]
	v_and_b32_sdwa v47, v148, s33 dst_sel:DWORD dst_unused:UNUSED_PAD src0_sel:WORD_1 src1_sel:DWORD
	v_cmp_ne_u16_e64 s[64:65], s33, v47
	v_cndmask_b32_e64 v40, v69, v40, s[62:63]
	s_nop 0
	v_cndmask_b32_e64 v41, v244, v41, s[64:65]
	v_cmp_ne_u16_e64 s[64:65], 0, v47
	s_nop 1
	v_cndmask_b32_e64 v41, 0, v41, s[64:65]
	v_cmp_ne_u16_e64 s[64:65], 1, v47
	;; [unrolled: 3-line block ×8, first 2 shown]
	v_and_b32_e32 v47, 0x7f, v43
	v_cmp_ne_u16_e64 s[66:67], s33, v47
	v_lshlrev_b16_e32 v43, 8, v43
	v_and_b32_e32 v43, 0xffff8000, v43
	v_cndmask_b32_e64 v44, v244, v44, s[66:67]
	v_cmp_ne_u16_e64 s[66:67], 0, v47
	v_cndmask_b32_e64 v41, v69, v41, s[64:65]
	s_nop 0
	v_cndmask_b32_e64 v44, 0, v44, s[66:67]
	v_cmp_ne_u16_e64 s[66:67], 1, v47
	s_nop 1
	v_cndmask_b32_e64 v44, v245, v44, s[66:67]
	v_cmp_ne_u16_e64 s[66:67], 2, v47
	;; [unrolled: 3-line block ×7, first 2 shown]
	v_and_b32_e32 v47, 0x7f, v148
	v_cmp_ne_u16_e64 s[68:69], s33, v47
	v_cndmask_b32_e64 v44, v69, v44, s[66:67]
	v_or_b32_e32 v43, v44, v43
	v_lshlrev_b16_sdwa v44, v70, v148 dst_sel:DWORD dst_unused:UNUSED_PAD src0_sel:DWORD src1_sel:WORD_1
	v_and_b32_e32 v44, 0xffff8000, v44
	v_or_b32_e32 v41, v41, v44
	v_lshlrev_b16_sdwa v44, v70, v148 dst_sel:DWORD dst_unused:UNUSED_PAD src0_sel:DWORD src1_sel:BYTE_3
	v_and_b32_e32 v44, 0xffff8000, v44
	v_or_b32_e32 v40, v40, v44
	.loc	1 74 33                         ; fp8_utils_aot.py:74:33
	v_perm_b32 v153, v40, v41, s13
	.loc	1 66 20                         ; fp8_utils_aot.py:66:20
	v_lshlrev_b16_sdwa v40, v71, v132 dst_sel:DWORD dst_unused:UNUSED_PAD src0_sel:DWORD src1_sel:BYTE_3
	.loc	1 67 20                         ; fp8_utils_aot.py:67:20
	v_cndmask_b32_e64 v42, v244, v42, s[68:69]
	v_cmp_ne_u16_e64 s[68:69], 0, v47
	.loc	1 66 20                         ; fp8_utils_aot.py:66:20
	v_and_b32_e32 v40, 0x3f80, v40
	v_and_b32_sdwa v41, v132, s33 dst_sel:DWORD dst_unused:UNUSED_PAD src0_sel:BYTE_3 src1_sel:DWORD
	.loc	1 67 20                         ; fp8_utils_aot.py:67:20
	v_cndmask_b32_e64 v42, 0, v42, s[68:69]
	v_cmp_ne_u16_e64 s[68:69], 1, v47
	.loc	1 66 20                         ; fp8_utils_aot.py:66:20
	v_add_u16_e32 v40, 0x2000, v40
	v_cmp_ne_u16_e64 s[62:63], s33, v41
	.loc	1 67 20                         ; fp8_utils_aot.py:67:20
	v_cndmask_b32_e64 v42, v245, v42, s[68:69]
	v_cmp_ne_u16_e64 s[68:69], 2, v47
	.loc	1 66 20                         ; fp8_utils_aot.py:66:20
	v_cndmask_b32_e64 v40, v244, v40, s[62:63]
	;; [unrolled: 3-line block ×11, first 2 shown]
	v_cmp_ne_u16_e64 s[68:69], 7, v47
	v_lshlrev_b16_e32 v47, 8, v148
	.loc	1 66 20                         ; fp8_utils_aot.py:66:20
	v_cndmask_b32_e64 v40, v252, v40, s[62:63]
	v_cmp_ne_u16_e64 s[62:63], 5, v41
	.loc	1 67 20                         ; fp8_utils_aot.py:67:20
	v_and_b32_e32 v47, 0xffff8000, v47
	v_cndmask_b32_e64 v42, v69, v42, s[68:69]
	.loc	1 66 20                         ; fp8_utils_aot.py:66:20
	v_lshlrev_b16_sdwa v44, v71, v132 dst_sel:DWORD dst_unused:UNUSED_PAD src0_sel:DWORD src1_sel:WORD_1
	v_cndmask_b32_e64 v40, v253, v40, s[62:63]
	v_cmp_ne_u16_e64 s[62:63], 6, v41
	.loc	1 67 20                         ; fp8_utils_aot.py:67:20
	v_or_b32_e32 v42, v42, v47
	.loc	1 66 20                         ; fp8_utils_aot.py:66:20
	v_and_b32_e32 v44, 0x3f80, v44
	v_cndmask_b32_e64 v40, v68, v40, s[62:63]
	v_cmp_ne_u16_e64 s[62:63], 7, v41
	v_and_b32_sdwa v41, v132, s33 dst_sel:DWORD dst_unused:UNUSED_PAD src0_sel:WORD_1 src1_sel:DWORD
	.loc	1 74 33                         ; fp8_utils_aot.py:74:33
	v_perm_b32 v152, v43, v42, s13
	.loc	1 66 20                         ; fp8_utils_aot.py:66:20
	v_add_u16_e32 v42, 0x2000, v44
	v_cmp_ne_u16_e64 s[64:65], s33, v41
	v_cndmask_b32_e64 v40, v69, v40, s[62:63]
	v_cndmask_b32_e64 v43, v69, v46, s[60:61]
	;; [unrolled: 1-line block ×3, first 2 shown]
	v_cmp_ne_u16_e64 s[64:65], 0, v41
	v_cndmask_b32_e64 v44, v69, v45, s[58:59]
	v_and_b32_e32 v46, 0x7f, v168
	v_cndmask_b32_e64 v42, 0, v42, s[64:65]
	v_cmp_ne_u16_e64 s[64:65], 1, v41
	v_cmp_ne_u16_e64 s[58:59], s33, v46
	v_cmp_ne_u16_e64 s[68:69], 7, v46
	v_cndmask_b32_e64 v42, v245, v42, s[64:65]
	v_cmp_ne_u16_e64 s[64:65], 2, v41
	v_lshlrev_b16_e32 v45, 8, v147
	.loc	1 74 33                         ; fp8_utils_aot.py:74:33
	v_mfma_f32_32x32x8_f16 v[0:15], v[152:153], v[150:151], v[0:15]
	.loc	1 66 20                         ; fp8_utils_aot.py:66:20
	v_cndmask_b32_e64 v42, v246, v42, s[64:65]
	v_cmp_ne_u16_e64 s[64:65], 3, v41
	v_lshlrev_b16_sdwa v150, v70, v147 dst_sel:DWORD dst_unused:UNUSED_PAD src0_sel:DWORD src1_sel:WORD_1
	v_lshrrev_b32_e32 v148, 8, v139
	v_cndmask_b32_e64 v42, v247, v42, s[64:65]
	v_cmp_ne_u16_e64 s[64:65], 4, v41
	v_cmp_ne_u16_e64 s[62:63], 7, v49
	s_nop 0
	v_cndmask_b32_e64 v42, v252, v42, s[64:65]
	v_cmp_ne_u16_e64 s[64:65], 5, v41
	s_nop 1
	v_cndmask_b32_e64 v42, v253, v42, s[64:65]
	;; [unrolled: 3-line block ×3, first 2 shown]
	v_cmp_ne_u16_e64 s[64:65], 7, v41
	v_lshlrev_b16_sdwa v41, v70, v132 dst_sel:DWORD dst_unused:UNUSED_PAD src0_sel:DWORD src1_sel:WORD_1
	.loc	1 74 33                         ; fp8_utils_aot.py:74:33
	v_and_b32_e32 v41, 0xffff8000, v41
	.loc	1 66 20                         ; fp8_utils_aot.py:66:20
	v_cndmask_b32_e64 v42, v69, v42, s[64:65]
	.loc	1 74 33                         ; fp8_utils_aot.py:74:33
	v_or_b32_e32 v41, v42, v41
	.loc	1 66 20                         ; fp8_utils_aot.py:66:20
	v_lshlrev_b16_sdwa v42, v70, v132 dst_sel:DWORD dst_unused:UNUSED_PAD src0_sel:DWORD src1_sel:BYTE_3
	.loc	1 74 33                         ; fp8_utils_aot.py:74:33
	v_and_b32_e32 v42, 0xffff8000, v42
	v_or_b32_e32 v42, v40, v42
	.loc	1 66 20                         ; fp8_utils_aot.py:66:20
	v_lshlrev_b16_e32 v40, 8, v132
	.loc	1 74 33                         ; fp8_utils_aot.py:74:33
	v_and_b32_e32 v40, 0xffff8000, v40
	v_or_b32_e32 v40, v43, v40
	.loc	1 66 20                         ; fp8_utils_aot.py:66:20
	v_lshlrev_b16_e32 v43, 8, v100
	.loc	1 74 33                         ; fp8_utils_aot.py:74:33
	v_and_b32_e32 v43, 0xffff8000, v43
	v_or_b32_e32 v43, v44, v43
	v_perm_b32 v40, v43, v40, s13
	.loc	1 66 20                         ; fp8_utils_aot.py:66:20
	v_lshlrev_b16_e32 v43, 7, v168
	v_and_b32_e32 v43, 0x3f80, v43
	v_add_u16_e32 v43, 0x2000, v43
	v_cndmask_b32_e64 v43, v244, v43, s[58:59]
	v_cmp_ne_u16_e64 s[58:59], 0, v46
	.loc	1 74 33                         ; fp8_utils_aot.py:74:33
	v_perm_b32 v41, v42, v41, s13
	.loc	1 66 20                         ; fp8_utils_aot.py:66:20
	v_lshlrev_b16_e32 v42, 7, v147
	v_cndmask_b32_e64 v43, 0, v43, s[58:59]
	v_cmp_ne_u16_e64 s[58:59], 1, v46
	v_and_b32_e32 v42, 0x3f80, v42
	v_add_u16_e32 v42, 0x2000, v42
	v_cndmask_b32_e64 v43, v245, v43, s[58:59]
	v_cmp_ne_u16_e64 s[58:59], 2, v46
	.loc	1 74 33                         ; fp8_utils_aot.py:74:33
	v_mfma_f32_32x32x8_f16 v[16:31], v[152:153], v[40:41], v[16:31]
	.loc	1 66 20                         ; fp8_utils_aot.py:66:20
	v_lshlrev_b16_sdwa v41, v71, v147 dst_sel:DWORD dst_unused:UNUSED_PAD src0_sel:DWORD src1_sel:WORD_1
	v_cndmask_b32_e64 v43, v246, v43, s[58:59]
	v_cmp_ne_u16_e64 s[58:59], 3, v46
	v_and_b32_e32 v41, 0x3f80, v41
	v_add_u16_e32 v41, 0x2000, v41
	v_cndmask_b32_e64 v43, v247, v43, s[58:59]
	v_cmp_ne_u16_e64 s[58:59], 4, v46
	v_lshlrev_b16_e32 v132, 8, v145
	v_lshlrev_b16_e32 v40, 8, v144
	v_cndmask_b32_e64 v43, v252, v43, s[58:59]
	v_cmp_ne_u16_e64 s[58:59], 5, v46
	.loc	1 74 33                         ; fp8_utils_aot.py:74:33
	v_and_b32_e32 v40, 0xffff8000, v40
	.loc	1 66 20                         ; fp8_utils_aot.py:66:20
	v_lshlrev_b16_e32 v100, 7, v133
	v_cndmask_b32_e64 v43, v253, v43, s[58:59]
	v_cmp_ne_u16_e64 s[58:59], 6, v46
	v_and_b32_sdwa v46, v147, s33 dst_sel:DWORD dst_unused:UNUSED_PAD src0_sel:BYTE_3 src1_sel:DWORD
	v_cmp_ne_u16_e64 s[78:79], 7, v46
	v_cndmask_b32_e64 v44, v68, v43, s[58:59]
	v_and_b32_e32 v43, 0x7f, v147
	v_cmp_ne_u16_e64 s[58:59], s33, v43
	v_cmp_ne_u16_e64 s[70:71], 7, v43
	.loc	1 74 33                         ; fp8_utils_aot.py:74:33
	v_and_b32_e32 v132, 0xffff8000, v132
	.loc	1 66 20                         ; fp8_utils_aot.py:66:20
	v_cndmask_b32_e64 v42, v244, v42, s[58:59]
	v_cmp_ne_u16_e64 s[58:59], 0, v43
	s_nop 1
	v_cndmask_b32_e64 v42, 0, v42, s[58:59]
	v_cmp_ne_u16_e64 s[58:59], 1, v43
	s_nop 1
	;; [unrolled: 3-line block ×6, first 2 shown]
	v_cndmask_b32_e64 v42, v253, v42, s[58:59]
	v_cmp_ne_u16_e64 s[58:59], 6, v43
	v_lshlrev_b16_sdwa v43, v71, v147 dst_sel:DWORD dst_unused:UNUSED_PAD src0_sel:DWORD src1_sel:BYTE_3
	v_and_b32_e32 v43, 0x3f80, v43
	v_cndmask_b32_e64 v52, v68, v42, s[58:59]
	v_and_b32_sdwa v42, v147, s33 dst_sel:DWORD dst_unused:UNUSED_PAD src0_sel:WORD_1 src1_sel:DWORD
	v_add_u16_e32 v43, 0x2000, v43
	v_cmp_ne_u16_e64 s[58:59], s33, v46
	v_cmp_ne_u16_e64 s[76:77], 7, v42
	v_cndmask_b32_e64 v52, v69, v52, s[70:71]
	v_cndmask_b32_e64 v43, v244, v43, s[58:59]
	v_cmp_ne_u16_e64 s[58:59], s33, v42
	s_nop 1
	v_cndmask_b32_e64 v41, v244, v41, s[58:59]
	v_cmp_ne_u16_e64 s[58:59], 0, v46
	s_nop 1
	;; [unrolled: 3-line block ×13, first 2 shown]
	v_cndmask_b32_e64 v41, v253, v41, s[58:59]
	v_cmp_ne_u16_e64 s[58:59], 6, v46
	v_and_b32_sdwa v46, v145, s33 dst_sel:DWORD dst_unused:UNUSED_PAD src0_sel:WORD_1 src1_sel:DWORD
	v_cmp_ne_u16_e64 s[66:67], 7, v46
	v_cndmask_b32_e64 v58, v68, v43, s[58:59]
	v_cmp_ne_u16_e64 s[58:59], 6, v42
	v_and_b32_e32 v42, 0x7f, v145
	v_lshlrev_b16_sdwa v43, v71, v145 dst_sel:DWORD dst_unused:UNUSED_PAD src0_sel:DWORD src1_sel:WORD_1
	v_cndmask_b32_e64 v57, v68, v41, s[58:59]
	v_lshlrev_b16_e32 v41, 7, v145
	v_and_b32_e32 v41, 0x3f80, v41
	v_add_u16_e32 v41, 0x2000, v41
	v_cmp_ne_u16_e64 s[58:59], s33, v42
	v_and_b32_e32 v43, 0x3f80, v43
	v_add_u16_e32 v43, 0x2000, v43
	v_cndmask_b32_e64 v41, v244, v41, s[58:59]
	v_cmp_ne_u16_e64 s[58:59], 0, v42
	v_cmp_ne_u16_e64 s[60:61], 7, v42
	s_nop 0
	v_cndmask_b32_e64 v41, 0, v41, s[58:59]
	v_cmp_ne_u16_e64 s[58:59], 1, v42
	s_nop 1
	v_cndmask_b32_e64 v41, v245, v41, s[58:59]
	;; [unrolled: 3-line block ×6, first 2 shown]
	v_cmp_ne_u16_e64 s[58:59], 6, v42
	v_lshlrev_b16_sdwa v42, v70, v144 dst_sel:DWORD dst_unused:UNUSED_PAD src0_sel:DWORD src1_sel:WORD_1
	s_nop 0
	v_cndmask_b32_e64 v47, v68, v41, s[58:59]
	v_cmp_ne_u16_e64 s[58:59], s33, v49
	v_lshlrev_b16_sdwa v41, v70, v144 dst_sel:DWORD dst_unused:UNUSED_PAD src0_sel:DWORD src1_sel:BYTE_3
	s_nop 0
	v_cndmask_b32_e64 v48, v244, v48, s[58:59]
	v_cmp_ne_u16_e64 s[58:59], 0, v49
	s_nop 1
	v_cndmask_b32_e64 v48, 0, v48, s[58:59]
	v_cmp_ne_u16_e64 s[58:59], 1, v49
	;; [unrolled: 3-line block ×15, first 2 shown]
	v_lshlrev_b16_e32 v46, 8, v139
	.loc	1 74 33                         ; fp8_utils_aot.py:74:33
	v_and_b32_e32 v46, 0xffff8000, v46
	.loc	1 66 20                         ; fp8_utils_aot.py:66:20
	v_cndmask_b32_e64 v50, v68, v43, s[58:59]
	v_cmp_ne_u16_e64 s[58:59], s33, v34
	v_cndmask_b32_e64 v43, v69, v101, s[46:47]
	v_lshlrev_b16_sdwa v101, v71, v133 dst_sel:DWORD dst_unused:UNUSED_PAD src0_sel:DWORD src1_sel:BYTE_3
	v_cndmask_b32_e64 v37, v244, v37, s[58:59]
	v_cmp_ne_u16_e64 s[58:59], 0, v34
	s_nop 1
	v_cndmask_b32_e64 v37, 0, v37, s[58:59]
	v_cmp_ne_u16_e64 s[58:59], 1, v34
	s_nop 1
	v_cndmask_b32_e64 v37, v245, v37, s[58:59]
	v_cmp_ne_u16_e64 s[58:59], 2, v34
	s_nop 1
	v_cndmask_b32_e64 v37, v246, v37, s[58:59]
	v_cmp_ne_u16_e64 s[58:59], 3, v34
	s_nop 1
	v_cndmask_b32_e64 v37, v247, v37, s[58:59]
	v_cmp_ne_u16_e64 s[58:59], 4, v34
	s_nop 1
	v_cndmask_b32_e64 v37, v252, v37, s[58:59]
	v_cmp_ne_u16_e64 s[58:59], 5, v34
	s_nop 1
	v_cndmask_b32_e64 v37, v253, v37, s[58:59]
	v_cmp_ne_u16_e64 s[58:59], 6, v34
	s_nop 1
	v_cndmask_b32_e64 v37, v68, v37, s[58:59]
	v_cmp_ne_u16_e64 s[58:59], 7, v34
	s_nop 1
	v_cndmask_b32_e64 v34, v69, v37, s[58:59]
	.loc	1 74 33                         ; fp8_utils_aot.py:74:33
	v_or_b32_e32 v34, v34, v32
	.loc	1 66 20                         ; fp8_utils_aot.py:66:20
	v_and_b32_e32 v32, 0x3f80, v33
	v_add_u16_e32 v32, 0x2000, v32
	v_cmp_ne_u16_e64 s[58:59], s33, v105
	.loc	1 74 33                         ; fp8_utils_aot.py:74:33
	v_and_b32_e32 v33, 0xffff8000, v102
	v_and_b32_e32 v37, 0xffff8000, v97
	.loc	1 66 20                         ; fp8_utils_aot.py:66:20
	v_cndmask_b32_e64 v32, v244, v32, s[58:59]
	v_cmp_ne_u16_e64 s[58:59], 0, v105
	v_cndmask_b32_e64 v97, v69, v176, s[92:93]
	v_and_b32_sdwa v102, v133, s33 dst_sel:DWORD dst_unused:UNUSED_PAD src0_sel:BYTE_3 src1_sel:DWORD
	v_cndmask_b32_e64 v32, 0, v32, s[58:59]
	v_cmp_ne_u16_e64 s[58:59], 1, v105
	s_nop 1
	v_cndmask_b32_e64 v32, v245, v32, s[58:59]
	v_cmp_ne_u16_e64 s[58:59], 2, v105
	s_nop 1
	;; [unrolled: 3-line block ×7, first 2 shown]
	v_cndmask_b32_e64 v32, v69, v32, s[58:59]
	.loc	1 74 33                         ; fp8_utils_aot.py:74:33
	v_or_b32_e32 v33, v32, v33
	.loc	1 66 20                         ; fp8_utils_aot.py:66:20
	v_and_b32_e32 v32, 0x3f80, v99
	v_add_u16_e32 v32, 0x2000, v32
	v_cmp_ne_u16_e64 s[58:59], s33, v98
	.loc	1 74 33                         ; fp8_utils_aot.py:74:33
	v_perm_b32 v147, v33, v34, s13
	.loc	1 66 20                         ; fp8_utils_aot.py:66:20
	v_lshlrev_b16_e32 v33, 7, v139
	v_cndmask_b32_e64 v32, v244, v32, s[58:59]
	v_cmp_ne_u16_e64 s[58:59], 0, v98
	v_and_b32_e32 v33, 0x3f80, v33
	v_and_b32_e32 v34, 0x7f, v139
	v_cndmask_b32_e64 v32, 0, v32, s[58:59]
	v_cmp_ne_u16_e64 s[58:59], 1, v98
	v_add_u16_e32 v33, 0x2000, v33
	v_cmp_ne_u16_e64 s[46:47], s33, v34
	v_cndmask_b32_e64 v32, v245, v32, s[58:59]
	v_cmp_ne_u16_e64 s[58:59], 2, v98
	v_cndmask_b32_e64 v33, v244, v33, s[46:47]
	;; [unrolled: 2-line block ×13, first 2 shown]
	.loc	1 74 33                         ; fp8_utils_aot.py:74:33
	v_or_b32_e32 v37, v32, v37
	.loc	1 66 20                         ; fp8_utils_aot.py:66:20
	v_lshlrev_b16_e32 v32, 8, v89
	.loc	1 74 33                         ; fp8_utils_aot.py:74:33
	v_and_b32_e32 v32, 0xffff8000, v32
	v_or_b32_e32 v43, v43, v32
	.loc	1 66 20                         ; fp8_utils_aot.py:66:20
	v_cndmask_b32_e64 v33, v253, v33, s[46:47]
	v_cmp_ne_u16_e64 s[46:47], 6, v34
	.loc	1 74 33                         ; fp8_utils_aot.py:74:33
	v_perm_b32 v146, v43, v37, s13
	.loc	1 66 20                         ; fp8_utils_aot.py:66:20
	v_cmp_ne_u16_e64 s[58:59], 7, v34
	v_cndmask_b32_e64 v105, v68, v33, s[46:47]
	v_lshlrev_b16_e32 v37, 8, v88
	v_cndmask_b32_e64 v43, v69, v35, s[48:49]
	v_cndmask_b32_e64 v34, v69, v36, s[50:51]
	;; [unrolled: 1-line block ×4, first 2 shown]
	.loc	1 74 33                         ; fp8_utils_aot.py:74:33
	v_and_b32_e32 v36, 0xffff8000, v103
	v_and_b32_e32 v38, 0xffff8000, v104
	v_or_b32_e32 v36, v33, v36
	v_or_b32_e32 v38, v35, v38
	v_and_b32_e32 v39, 0xffff8000, v96
	v_and_b32_e32 v37, 0xffff8000, v37
	v_or_b32_e32 v39, v34, v39
	v_or_b32_e32 v37, v43, v37
	v_perm_b32 v145, v38, v36, s13
	.loc	1 66 20                         ; fp8_utils_aot.py:66:20
	v_lshlrev_b16_sdwa v38, v71, v139 dst_sel:DWORD dst_unused:UNUSED_PAD src0_sel:DWORD src1_sel:BYTE_3
	.loc	1 74 33                         ; fp8_utils_aot.py:74:33
	v_perm_b32 v144, v37, v39, s13
	.loc	1 66 20                         ; fp8_utils_aot.py:66:20
	v_and_b32_sdwa v39, v139, s33 dst_sel:DWORD dst_unused:UNUSED_PAD src0_sel:BYTE_3 src1_sel:DWORD
	v_and_b32_e32 v38, 0x3f80, v38
	v_add_u16_e32 v38, 0x2000, v38
	v_cmp_ne_u16_e64 s[46:47], s33, v39
	v_lshlrev_b16_sdwa v36, v71, v139 dst_sel:DWORD dst_unused:UNUSED_PAD src0_sel:DWORD src1_sel:WORD_1
	v_and_b32_sdwa v37, v139, s33 dst_sel:DWORD dst_unused:UNUSED_PAD src0_sel:WORD_1 src1_sel:DWORD
	v_cndmask_b32_e64 v38, v244, v38, s[46:47]
	v_cmp_ne_u16_e64 s[46:47], 0, v39
	v_and_b32_e32 v36, 0x3f80, v36
	v_add_u16_e32 v36, 0x2000, v36
	v_cndmask_b32_e64 v38, 0, v38, s[46:47]
	v_cmp_ne_u16_e64 s[46:47], 1, v39
	v_lshrrev_b32_e32 v32, 8, v138
	v_lshlrev_b16_e32 v33, 8, v138
	v_cndmask_b32_e64 v38, v245, v38, s[46:47]
	v_cmp_ne_u16_e64 s[46:47], 2, v39
	v_lshlrev_b16_sdwa v35, v70, v138 dst_sel:DWORD dst_unused:UNUSED_PAD src0_sel:DWORD src1_sel:WORD_1
	v_lshlrev_b16_sdwa v34, v70, v138 dst_sel:DWORD dst_unused:UNUSED_PAD src0_sel:DWORD src1_sel:BYTE_3
	v_cndmask_b32_e64 v38, v246, v38, s[46:47]
	v_cmp_ne_u16_e64 s[46:47], 3, v39
	v_lshrrev_b32_e32 v138, 8, v130
	v_cmp_ne_u16_e64 s[74:75], 7, v37
	v_cndmask_b32_e64 v38, v247, v38, s[46:47]
	v_cmp_ne_u16_e64 s[46:47], 4, v39
	v_lshrrev_b32_e32 v43, 8, v128
	v_cmp_ne_u16_e64 s[72:73], 7, v39
	v_cndmask_b32_e64 v38, v252, v38, s[46:47]
	v_cmp_ne_u16_e64 s[46:47], 5, v39
	.loc	1 74 33                         ; fp8_utils_aot.py:74:33
	v_and_b32_e32 v33, 0xffff8000, v33
	v_and_b32_e32 v35, 0xffff8000, v35
	.loc	1 66 20                         ; fp8_utils_aot.py:66:20
	v_cndmask_b32_e64 v38, v253, v38, s[46:47]
	v_cmp_ne_u16_e64 s[46:47], 6, v39
	.loc	1 74 33                         ; fp8_utils_aot.py:74:33
	v_and_b32_e32 v39, 0xffff8000, v90
	v_and_b32_e32 v34, 0xffff8000, v34
	.loc	1 66 20                         ; fp8_utils_aot.py:66:20
	v_cndmask_b32_e64 v54, v68, v38, s[46:47]
	v_cmp_ne_u16_e64 s[46:47], s33, v37
	.loc	1 74 33                         ; fp8_utils_aot.py:74:33
	v_and_b32_e32 v38, 0xffff8000, v60
	v_lshrrev_b32_e32 v60, 8, v126
	.loc	1 66 20                         ; fp8_utils_aot.py:66:20
	v_cndmask_b32_e64 v36, v244, v36, s[46:47]
	v_cmp_ne_u16_e64 s[46:47], 0, v37
	v_lshlrev_b16_e32 v99, 8, v166
	.loc	1 74 33                         ; fp8_utils_aot.py:74:33
	v_and_b32_e32 v99, 0xffff8000, v99
	.loc	1 66 20                         ; fp8_utils_aot.py:66:20
	v_cndmask_b32_e64 v36, 0, v36, s[46:47]
	v_cmp_ne_u16_e64 s[46:47], 1, v37
	v_and_b32_sdwa v104, v133, s33 dst_sel:DWORD dst_unused:UNUSED_PAD src0_sel:WORD_1 src1_sel:DWORD
	v_cndmask_b32_e64 v54, v69, v54, s[72:73]
	v_cndmask_b32_e64 v36, v245, v36, s[46:47]
	v_cmp_ne_u16_e64 s[46:47], 2, v37
	v_cndmask_b32_e64 v105, v69, v105, s[58:59]
	.loc	1 74 33                         ; fp8_utils_aot.py:74:33
	v_or_b32_e32 v51, v54, v51
	.loc	1 66 20                         ; fp8_utils_aot.py:66:20
	v_cndmask_b32_e64 v36, v246, v36, s[46:47]
	v_cmp_ne_u16_e64 s[46:47], 3, v37
	.loc	1 74 33                         ; fp8_utils_aot.py:74:33
	v_or_b32_e32 v46, v105, v46
	.loc	1 66 20                         ; fp8_utils_aot.py:66:20
	s_nop 0
	v_cndmask_b32_e64 v36, v247, v36, s[46:47]
	v_cmp_ne_u16_e64 s[46:47], 4, v37
	s_nop 1
	v_cndmask_b32_e64 v36, v252, v36, s[46:47]
	v_cmp_ne_u16_e64 s[46:47], 5, v37
	;; [unrolled: 3-line block ×3, first 2 shown]
	v_and_b32_e32 v37, 0x7f, v138
	v_cmp_ne_u16_e64 s[52:53], 7, v37
	v_cndmask_b32_e64 v56, v68, v36, s[46:47]
	v_lshlrev_b16_e32 v36, 7, v138
	v_and_b32_e32 v36, 0x3f80, v36
	v_add_u16_e32 v36, 0x2000, v36
	v_cmp_ne_u16_e64 s[46:47], s33, v37
	s_nop 1
	v_cndmask_b32_e64 v36, v244, v36, s[46:47]
	v_cmp_ne_u16_e64 s[46:47], 0, v37
	s_nop 1
	v_cndmask_b32_e64 v36, 0, v36, s[46:47]
	;; [unrolled: 3-line block ×7, first 2 shown]
	v_cmp_ne_u16_e64 s[46:47], 6, v37
	v_and_b32_e32 v37, 0x7f, v130
	v_cmp_ne_u16_e64 s[50:51], 7, v37
	v_cndmask_b32_e64 v142, v68, v36, s[46:47]
	v_lshlrev_b16_e32 v36, 7, v130
	v_and_b32_e32 v36, 0x3f80, v36
	v_add_u16_e32 v36, 0x2000, v36
	v_cmp_ne_u16_e64 s[46:47], s33, v37
	s_nop 1
	v_cndmask_b32_e64 v36, v244, v36, s[46:47]
	v_cmp_ne_u16_e64 s[46:47], 0, v37
	s_nop 1
	v_cndmask_b32_e64 v36, 0, v36, s[46:47]
	v_cmp_ne_u16_e64 s[46:47], 1, v37
	s_nop 1
	v_cndmask_b32_e64 v36, v245, v36, s[46:47]
	v_cmp_ne_u16_e64 s[46:47], 2, v37
	s_nop 1
	v_cndmask_b32_e64 v36, v246, v36, s[46:47]
	v_cmp_ne_u16_e64 s[46:47], 3, v37
	s_nop 1
	v_cndmask_b32_e64 v36, v247, v36, s[46:47]
	v_cmp_ne_u16_e64 s[46:47], 4, v37
	s_nop 1
	v_cndmask_b32_e64 v36, v252, v36, s[46:47]
	v_cmp_ne_u16_e64 s[46:47], 5, v37
	s_nop 1
	v_cndmask_b32_e64 v36, v253, v36, s[46:47]
	v_cmp_ne_u16_e64 s[46:47], 6, v37
	v_and_b32_sdwa v37, v130, s33 dst_sel:DWORD dst_unused:UNUSED_PAD src0_sel:BYTE_3 src1_sel:DWORD
	v_cmp_ne_u16_e64 s[54:55], 7, v37
	v_cndmask_b32_e64 v139, v68, v36, s[46:47]
	v_lshlrev_b16_sdwa v36, v71, v130 dst_sel:DWORD dst_unused:UNUSED_PAD src0_sel:DWORD src1_sel:BYTE_3
	v_and_b32_e32 v36, 0x3f80, v36
	v_add_u16_e32 v36, 0x2000, v36
	v_cmp_ne_u16_e64 s[46:47], s33, v37
	s_nop 1
	v_cndmask_b32_e64 v36, v244, v36, s[46:47]
	v_cmp_ne_u16_e64 s[46:47], 0, v37
	s_nop 1
	v_cndmask_b32_e64 v36, 0, v36, s[46:47]
	;; [unrolled: 3-line block ×7, first 2 shown]
	v_cmp_ne_u16_e64 s[46:47], 6, v37
	v_and_b32_sdwa v37, v130, s33 dst_sel:DWORD dst_unused:UNUSED_PAD src0_sel:WORD_1 src1_sel:DWORD
	v_cmp_ne_u16_e64 s[64:65], 7, v37
	v_cndmask_b32_e64 v151, v68, v36, s[46:47]
	v_lshlrev_b16_sdwa v36, v71, v130 dst_sel:DWORD dst_unused:UNUSED_PAD src0_sel:DWORD src1_sel:WORD_1
	v_and_b32_e32 v36, 0x3f80, v36
	v_add_u16_e32 v36, 0x2000, v36
	v_cmp_ne_u16_e64 s[46:47], s33, v37
	s_nop 1
	v_cndmask_b32_e64 v36, v244, v36, s[46:47]
	v_cmp_ne_u16_e64 s[46:47], 0, v37
	s_nop 1
	v_cndmask_b32_e64 v36, 0, v36, s[46:47]
	;; [unrolled: 3-line block ×7, first 2 shown]
	v_cmp_ne_u16_e64 s[46:47], 6, v37
	v_and_b32_e32 v37, 0x7f, v43
	s_nop 0
	v_cndmask_b32_e64 v49, v68, v36, s[46:47]
	v_lshlrev_b16_e32 v36, 7, v43
	v_and_b32_e32 v36, 0x3f80, v36
	v_add_u16_e32 v36, 0x2000, v36
	v_cmp_ne_u16_e64 s[46:47], s33, v37
	v_lshlrev_b16_e32 v43, 8, v43
	.loc	1 74 33                         ; fp8_utils_aot.py:74:33
	v_and_b32_e32 v43, 0xffff8000, v43
	.loc	1 66 20                         ; fp8_utils_aot.py:66:20
	v_cndmask_b32_e64 v36, v244, v36, s[46:47]
	v_cmp_ne_u16_e64 s[46:47], 0, v37
	s_nop 1
	v_cndmask_b32_e64 v36, 0, v36, s[46:47]
	v_cmp_ne_u16_e64 s[46:47], 1, v37
	s_nop 1
	v_cndmask_b32_e64 v36, v245, v36, s[46:47]
	v_cmp_ne_u16_e64 s[46:47], 2, v37
	s_nop 1
	v_cndmask_b32_e64 v36, v246, v36, s[46:47]
	v_cmp_ne_u16_e64 s[46:47], 3, v37
	s_nop 1
	v_cndmask_b32_e64 v36, v247, v36, s[46:47]
	v_cmp_ne_u16_e64 s[46:47], 4, v37
	s_nop 1
	v_cndmask_b32_e64 v36, v252, v36, s[46:47]
	v_cmp_ne_u16_e64 s[46:47], 5, v37
	s_nop 1
	v_cndmask_b32_e64 v36, v253, v36, s[46:47]
	v_cmp_ne_u16_e64 s[46:47], 6, v37
	s_nop 1
	v_cndmask_b32_e64 v88, v68, v36, s[46:47]
	v_lshlrev_b16_e32 v36, 7, v128
	v_cmp_ne_u16_e64 s[46:47], 7, v37
	v_and_b32_e32 v36, 0x3f80, v36
	v_and_b32_e32 v37, 0x7f, v128
	v_add_u16_e32 v36, 0x2000, v36
	v_cmp_ne_u16_e64 s[48:49], s33, v37
	v_cndmask_b32_e64 v88, v69, v88, s[46:47]
	.loc	1 74 33                         ; fp8_utils_aot.py:74:33
	v_or_b32_e32 v43, v88, v43
	.loc	1 66 20                         ; fp8_utils_aot.py:66:20
	v_cndmask_b32_e64 v36, v244, v36, s[48:49]
	v_cmp_ne_u16_e64 s[48:49], 0, v37
	v_lshlrev_b16_sdwa v88, v70, v126 dst_sel:DWORD dst_unused:UNUSED_PAD src0_sel:DWORD src1_sel:WORD_1
	s_nop 0
	v_cndmask_b32_e64 v36, 0, v36, s[48:49]
	v_cmp_ne_u16_e64 s[48:49], 1, v37
	s_nop 1
	v_cndmask_b32_e64 v36, v245, v36, s[48:49]
	v_cmp_ne_u16_e64 s[48:49], 2, v37
	;; [unrolled: 3-line block ×6, first 2 shown]
	s_nop 1
	v_cndmask_b32_e64 v103, v68, v36, s[48:49]
	v_and_b32_e32 v36, 0x3f80, v95
	v_add_u16_e32 v36, 0x2000, v36
	v_cndmask_b32_e64 v36, v244, v36, s[80:81]
	v_cmp_ne_u16_e64 s[80:81], 0, v59
	v_cmp_ne_u16_e64 s[48:49], 7, v37
	.loc	1 74 33                         ; fp8_utils_aot.py:74:33
	v_and_b32_e32 v37, 0xffff8000, v94
	.loc	1 66 20                         ; fp8_utils_aot.py:66:20
	v_cndmask_b32_e64 v36, 0, v36, s[80:81]
	v_cmp_ne_u16_e64 s[80:81], 1, v59
	.loc	1 74 33                         ; fp8_utils_aot.py:74:33
	v_and_b32_e32 v94, 0xffff8000, v177
	.loc	1 66 20                         ; fp8_utils_aot.py:66:20
	v_cndmask_b32_e64 v103, v69, v103, s[48:49]
	v_cndmask_b32_e64 v36, v245, v36, s[80:81]
	v_cmp_ne_u16_e64 s[80:81], 2, v59
	s_nop 1
	v_cndmask_b32_e64 v36, v246, v36, s[80:81]
	v_cmp_ne_u16_e64 s[80:81], 3, v59
	s_nop 1
	;; [unrolled: 3-line block ×5, first 2 shown]
	v_cndmask_b32_e64 v36, v68, v36, s[80:81]
	v_cmp_ne_u16_e64 s[80:81], 7, v59
	v_cndmask_b32_e64 v59, v69, v92, s[44:45]
	v_cmp_ne_u16_e64 s[44:45], s33, v63
	v_cndmask_b32_e64 v36, v69, v36, s[80:81]
	.loc	1 74 33                         ; fp8_utils_aot.py:74:33
	v_or_b32_e32 v36, v36, v37
	.loc	1 66 20                         ; fp8_utils_aot.py:66:20
	v_and_b32_e32 v37, 0x3f80, v62
	v_add_u16_e32 v37, 0x2000, v37
	v_cmp_ne_u16_e64 s[80:81], s33, v61
	v_lshrrev_b32_e32 v92, 8, v135
	s_nop 0
	v_cndmask_b32_e64 v37, v244, v37, s[80:81]
	v_cmp_ne_u16_e64 s[80:81], 0, v61
	s_nop 1
	v_cndmask_b32_e64 v37, 0, v37, s[80:81]
	v_cmp_ne_u16_e64 s[80:81], 1, v61
	;; [unrolled: 3-line block ×8, first 2 shown]
	s_nop 1
	v_cndmask_b32_e64 v37, v69, v37, s[80:81]
	.loc	1 74 33                         ; fp8_utils_aot.py:74:33
	v_or_b32_e32 v38, v37, v38
	.loc	1 66 20                         ; fp8_utils_aot.py:66:20
	v_and_b32_e32 v37, 0x3f80, v93
	v_add_u16_e32 v37, 0x2000, v37
	v_cmp_ne_u16_e64 s[80:81], s33, v91
	.loc	1 74 33                         ; fp8_utils_aot.py:74:33
	v_perm_b32 v153, v38, v36, s13
	.loc	1 66 20                         ; fp8_utils_aot.py:66:20
	v_lshlrev_b16_sdwa v36, v71, v128 dst_sel:DWORD dst_unused:UNUSED_PAD src0_sel:DWORD src1_sel:BYTE_3
	v_cndmask_b32_e64 v37, v244, v37, s[80:81]
	v_cmp_ne_u16_e64 s[80:81], 0, v91
	v_and_b32_e32 v36, 0x3f80, v36
	v_and_b32_sdwa v38, v128, s33 dst_sel:DWORD dst_unused:UNUSED_PAD src0_sel:BYTE_3 src1_sel:DWORD
	v_cndmask_b32_e64 v37, 0, v37, s[80:81]
	v_cmp_ne_u16_e64 s[80:81], 1, v91
	v_add_u16_e32 v36, 0x2000, v36
	s_nop 0
	v_cndmask_b32_e64 v37, v245, v37, s[80:81]
	v_cmp_ne_u16_e64 s[80:81], 2, v91
	s_nop 1
	v_cndmask_b32_e64 v37, v246, v37, s[80:81]
	v_cmp_ne_u16_e64 s[80:81], 3, v91
	s_nop 1
	v_cndmask_b32_e64 v37, v247, v37, s[80:81]
	v_cmp_ne_u16_e64 s[80:81], 4, v91
	s_nop 1
	v_cndmask_b32_e64 v37, v252, v37, s[80:81]
	v_cmp_ne_u16_e64 s[80:81], 5, v91
	s_nop 1
	v_cndmask_b32_e64 v37, v253, v37, s[80:81]
	v_cmp_ne_u16_e64 s[80:81], 6, v91
	s_nop 1
	v_cndmask_b32_e64 v37, v68, v37, s[80:81]
	v_cmp_ne_u16_e64 s[80:81], 7, v91
	s_nop 1
	v_cndmask_b32_e64 v37, v69, v37, s[80:81]
	.loc	1 74 33                         ; fp8_utils_aot.py:74:33
	v_or_b32_e32 v39, v37, v39
	.loc	1 66 20                         ; fp8_utils_aot.py:66:20
	v_lshlrev_b16_e32 v37, 8, v87
	.loc	1 74 33                         ; fp8_utils_aot.py:74:33
	v_and_b32_e32 v37, 0xffff8000, v37
	v_or_b32_e32 v59, v59, v37
	.loc	1 66 20                         ; fp8_utils_aot.py:66:20
	v_and_b32_e32 v37, 0x3f80, v64
	v_add_u16_e32 v37, 0x2000, v37
	v_cndmask_b32_e64 v37, v244, v37, s[44:45]
	v_cmp_ne_u16_e64 s[44:45], 0, v63
	.loc	1 74 33                         ; fp8_utils_aot.py:74:33
	v_perm_b32 v152, v59, v39, s13
	.loc	1 66 20                         ; fp8_utils_aot.py:66:20
	v_cmp_ne_u16_e64 s[80:81], 7, v38
	v_cndmask_b32_e64 v37, 0, v37, s[44:45]
	v_cmp_ne_u16_e64 s[44:45], 1, v63
	.loc	1 74 33                         ; fp8_utils_aot.py:74:33
	v_and_b32_e32 v39, 0xffff8000, v41
	.loc	1 66 20                         ; fp8_utils_aot.py:66:20
	v_cndmask_b32_e64 v41, v69, v155, s[40:41]
	v_cndmask_b32_e64 v37, v245, v37, s[44:45]
	v_cmp_ne_u16_e64 s[44:45], 2, v63
	.loc	1 74 33                         ; fp8_utils_aot.py:74:33
	v_or_b32_e32 v40, v41, v40
	.loc	1 66 20                         ; fp8_utils_aot.py:66:20
	v_lshlrev_b16_e32 v41, 7, v126
	v_cndmask_b32_e64 v37, v246, v37, s[44:45]
	v_cmp_ne_u16_e64 s[44:45], 3, v63
	v_and_b32_e32 v41, 0x3f80, v41
	s_nop 0
	v_cndmask_b32_e64 v37, v247, v37, s[44:45]
	v_cmp_ne_u16_e64 s[44:45], 4, v63
	s_nop 1
	v_cndmask_b32_e64 v37, v252, v37, s[44:45]
	v_cmp_ne_u16_e64 s[44:45], 5, v63
	;; [unrolled: 3-line block ×12, first 2 shown]
	.loc	1 74 33                         ; fp8_utils_aot.py:74:33
	v_and_b32_e32 v38, 0xffff8000, v42
	v_or_b32_e32 v37, v37, v38
	.loc	1 66 20                         ; fp8_utils_aot.py:66:20
	v_cndmask_b32_e64 v59, v68, v36, s[44:45]
	v_lshlrev_b16_sdwa v36, v71, v128 dst_sel:DWORD dst_unused:UNUSED_PAD src0_sel:DWORD src1_sel:WORD_1
	v_and_b32_e32 v36, 0x3f80, v36
	v_and_b32_sdwa v38, v128, s33 dst_sel:DWORD dst_unused:UNUSED_PAD src0_sel:WORD_1 src1_sel:DWORD
	v_add_u16_e32 v36, 0x2000, v36
	v_cmp_ne_u16_e64 s[44:45], s33, v38
	v_cmp_ne_u16_e64 s[82:83], 7, v38
	.loc	1 74 33                         ; fp8_utils_aot.py:74:33
	v_and_b32_e32 v42, 0xffff8000, v73
	.loc	1 66 20                         ; fp8_utils_aot.py:66:20
	v_cndmask_b32_e64 v36, v244, v36, s[44:45]
	v_cmp_ne_u16_e64 s[44:45], 0, v38
	v_and_b32_sdwa v73, v122, s33 dst_sel:DWORD dst_unused:UNUSED_PAD src0_sel:WORD_1 src1_sel:DWORD
	v_cndmask_b32_e64 v59, v69, v59, s[80:81]
	v_cndmask_b32_e64 v36, 0, v36, s[44:45]
	v_cmp_ne_u16_e64 s[44:45], 1, v38
	s_nop 1
	v_cndmask_b32_e64 v36, v245, v36, s[44:45]
	v_cmp_ne_u16_e64 s[44:45], 2, v38
	s_nop 1
	;; [unrolled: 3-line block ×5, first 2 shown]
	v_cndmask_b32_e64 v36, v253, v36, s[44:45]
	v_cmp_ne_u16_e64 s[44:45], 6, v38
	v_and_b32_e32 v38, 0x7f, v154
	s_nop 0
	v_cndmask_b32_e64 v95, v68, v36, s[44:45]
	v_lshlrev_b16_e32 v36, 7, v154
	v_and_b32_e32 v36, 0x3f80, v36
	v_add_u16_e32 v36, 0x2000, v36
	v_cmp_ne_u16_e64 s[44:45], s33, v38
	v_cndmask_b32_e64 v95, v69, v95, s[82:83]
	s_nop 0
	v_cndmask_b32_e64 v36, v244, v36, s[44:45]
	v_cmp_ne_u16_e64 s[44:45], 0, v38
	s_nop 1
	v_cndmask_b32_e64 v36, 0, v36, s[44:45]
	v_cmp_ne_u16_e64 s[44:45], 1, v38
	;; [unrolled: 3-line block ×8, first 2 shown]
	v_cndmask_b32_e64 v38, v69, v157, s[42:43]
	.loc	1 74 33                         ; fp8_utils_aot.py:74:33
	v_or_b32_e32 v38, v38, v39
	.loc	1 66 20                         ; fp8_utils_aot.py:66:20
	v_lshlrev_b16_e32 v39, 8, v154
	v_cndmask_b32_e64 v36, v69, v36, s[44:45]
	.loc	1 74 33                         ; fp8_utils_aot.py:74:33
	v_and_b32_e32 v39, 0xffff8000, v39
	v_or_b32_e32 v36, v36, v39
	v_perm_b32 v154, v36, v40, s13
	.loc	1 66 20                         ; fp8_utils_aot.py:66:20
	v_lshlrev_b16_e32 v36, 7, v60
	.loc	1 74 33                         ; fp8_utils_aot.py:74:33
	v_perm_b32 v155, v38, v37, s13
	.loc	1 66 20                         ; fp8_utils_aot.py:66:20
	v_and_b32_e32 v36, 0x3f80, v36
	v_and_b32_e32 v37, 0x7f, v60
	v_and_b32_e32 v39, 0x7f, v126
	v_add_u16_e32 v36, 0x2000, v36
	v_cmp_ne_u16_e64 s[40:41], s33, v37
	v_add_u16_e32 v38, 0x2000, v41
	v_cmp_ne_u16_e64 s[86:87], 7, v37
	v_cndmask_b32_e64 v36, v244, v36, s[40:41]
	v_cmp_ne_u16_e64 s[40:41], s33, v39
	v_cmp_ne_u16_e64 s[88:89], 7, v39
	v_and_b32_sdwa v40, v126, s33 dst_sel:DWORD dst_unused:UNUSED_PAD src0_sel:WORD_1 src1_sel:DWORD
	v_cndmask_b32_e64 v38, v244, v38, s[40:41]
	v_cmp_ne_u16_e64 s[40:41], 0, v37
	.loc	1 74 33                         ; fp8_utils_aot.py:74:33
	v_and_b32_e32 v41, 0xffff8000, v75
	.loc	1 66 20                         ; fp8_utils_aot.py:66:20
	v_cmp_ne_u16_e64 s[90:91], 7, v40
	v_cndmask_b32_e64 v36, 0, v36, s[40:41]
	v_cmp_ne_u16_e64 s[40:41], 0, v39
	v_and_b32_e32 v75, 0x7f, v137
	v_cmp_ne_u16_e64 s[42:43], s33, v102
	v_cndmask_b32_e64 v38, 0, v38, s[40:41]
	v_cmp_ne_u16_e64 s[40:41], 1, v37
	v_cmp_ne_u16_e64 s[44:45], s33, v104
	v_lshlrev_b16_e32 v60, 8, v60
	v_cndmask_b32_e64 v36, v245, v36, s[40:41]
	v_cmp_ne_u16_e64 s[40:41], 1, v39
	.loc	1 74 33                         ; fp8_utils_aot.py:74:33
	v_and_b32_e32 v60, 0xffff8000, v60
	.loc	1 66 20                         ; fp8_utils_aot.py:66:20
	s_nop 0
	v_cndmask_b32_e64 v38, v245, v38, s[40:41]
	v_cmp_ne_u16_e64 s[40:41], 2, v37
	s_nop 1
	v_cndmask_b32_e64 v36, v246, v36, s[40:41]
	v_cmp_ne_u16_e64 s[40:41], 2, v39
	;; [unrolled: 3-line block ×9, first 2 shown]
	v_and_b32_sdwa v37, v126, s33 dst_sel:DWORD dst_unused:UNUSED_PAD src0_sel:BYTE_3 src1_sel:DWORD
	v_cmp_ne_u16_e64 s[84:85], 7, v37
	v_cndmask_b32_e64 v62, v68, v36, s[40:41]
	v_lshlrev_b16_sdwa v36, v71, v126 dst_sel:DWORD dst_unused:UNUSED_PAD src0_sel:DWORD src1_sel:BYTE_3
	v_cmp_ne_u16_e64 s[40:41], 6, v39
	v_and_b32_e32 v36, 0x3f80, v36
	v_add_u16_e32 v36, 0x2000, v36
	v_cndmask_b32_e64 v63, v68, v38, s[40:41]
	v_cmp_ne_u16_e64 s[40:41], s33, v37
	v_cndmask_b32_e64 v39, v69, v79, s[28:29]
	.loc	1 74 33                         ; fp8_utils_aot.py:74:33
	v_or_b32_e32 v33, v39, v33
	.loc	1 66 20                         ; fp8_utils_aot.py:66:20
	v_cndmask_b32_e64 v36, v244, v36, s[40:41]
	v_cmp_ne_u16_e64 s[40:41], 0, v37
	v_lshlrev_b16_sdwa v39, v71, v126 dst_sel:DWORD dst_unused:UNUSED_PAD src0_sel:DWORD src1_sel:WORD_1
	v_and_b32_e32 v39, 0x3f80, v39
	v_cndmask_b32_e64 v36, 0, v36, s[40:41]
	v_cmp_ne_u16_e64 s[40:41], 1, v37
	v_cmp_ne_u16_e64 s[28:29], s33, v40
	v_cndmask_b32_e64 v38, v69, v81, s[34:35]
	v_cndmask_b32_e64 v36, v245, v36, s[40:41]
	v_cmp_ne_u16_e64 s[40:41], 2, v37
	.loc	1 74 33                         ; fp8_utils_aot.py:74:33
	v_or_b32_e32 v38, v38, v35
	v_lshrrev_b32_e32 v35, 8, v124
	.loc	1 66 20                         ; fp8_utils_aot.py:66:20
	v_cndmask_b32_e64 v36, v246, v36, s[40:41]
	v_cmp_ne_u16_e64 s[40:41], 3, v37
	v_and_b32_e32 v79, 0x7f, v92
	v_and_b32_e32 v81, 0x3f80, v179
	v_cndmask_b32_e64 v36, v247, v36, s[40:41]
	v_cmp_ne_u16_e64 s[40:41], 4, v37
	v_add_u16_e32 v81, 0x2000, v81
	v_cndmask_b32_e64 v62, v69, v62, s[86:87]
	v_cndmask_b32_e64 v36, v252, v36, s[40:41]
	v_cmp_ne_u16_e64 s[40:41], 5, v37
	.loc	1 74 33                         ; fp8_utils_aot.py:74:33
	v_or_b32_e32 v60, v62, v60
	.loc	1 66 20                         ; fp8_utils_aot.py:66:20
	v_cndmask_b32_e64 v63, v69, v63, s[88:89]
	v_cndmask_b32_e64 v36, v253, v36, s[40:41]
	v_cmp_ne_u16_e64 s[40:41], 6, v37
	v_and_b32_e32 v37, 0x7f, v32
	s_nop 0
	v_cndmask_b32_e64 v61, v68, v36, s[40:41]
	v_lshlrev_b16_e32 v36, 7, v32
	v_and_b32_e32 v36, 0x3f80, v36
	v_add_u16_e32 v36, 0x2000, v36
	v_cmp_ne_u16_e64 s[40:41], s33, v37
	v_lshlrev_b16_e32 v32, 8, v32
	.loc	1 74 33                         ; fp8_utils_aot.py:74:33
	v_and_b32_e32 v32, 0xffff8000, v32
	.loc	1 66 20                         ; fp8_utils_aot.py:66:20
	v_cndmask_b32_e64 v36, v244, v36, s[40:41]
	v_cmp_ne_u16_e64 s[40:41], 0, v37
	v_cndmask_b32_e64 v61, v69, v61, s[84:85]
	v_readlane_b32 s84, v254, 27
	v_cndmask_b32_e64 v36, 0, v36, s[40:41]
	v_cmp_ne_u16_e64 s[40:41], 1, v37
	v_readlane_b32 s85, v254, 28
	v_readlane_b32 s86, v254, 29
	v_cndmask_b32_e64 v36, v245, v36, s[40:41]
	v_cmp_ne_u16_e64 s[40:41], 2, v37
	v_readlane_b32 s87, v254, 30
	s_nop 0
	v_cndmask_b32_e64 v36, v246, v36, s[40:41]
	v_cmp_ne_u16_e64 s[40:41], 3, v37
	s_nop 1
	v_cndmask_b32_e64 v36, v247, v36, s[40:41]
	v_cmp_ne_u16_e64 s[40:41], 4, v37
	;; [unrolled: 3-line block ×5, first 2 shown]
	s_nop 1
	v_cndmask_b32_e64 v37, v69, v36, s[40:41]
	.loc	1 74 33                         ; fp8_utils_aot.py:74:33
	v_or_b32_e32 v32, v37, v32
	.loc	1 66 20                         ; fp8_utils_aot.py:66:20
	v_add_u16_e32 v37, 0x2000, v39
	v_cndmask_b32_e64 v37, v244, v37, s[28:29]
	v_cmp_ne_u16_e64 s[28:29], 0, v40
	v_cndmask_b32_e64 v36, v69, v156, s[38:39]
	.loc	1 74 33                         ; fp8_utils_aot.py:74:33
	v_perm_b32 v156, v32, v33, s13
	.loc	1 66 20                         ; fp8_utils_aot.py:66:20
	v_cndmask_b32_e64 v37, 0, v37, s[28:29]
	v_cmp_ne_u16_e64 s[28:29], 1, v40
	v_lshlrev_b16_e32 v32, 7, v35
	v_and_b32_e32 v32, 0x3f80, v32
	v_cndmask_b32_e64 v37, v245, v37, s[28:29]
	v_cmp_ne_u16_e64 s[28:29], 2, v40
	v_and_b32_e32 v33, 0x7f, v35
	v_add_u16_e32 v32, 0x2000, v32
	v_cndmask_b32_e64 v37, v246, v37, s[28:29]
	v_cmp_ne_u16_e64 s[28:29], 3, v40
	.loc	1 74 33                         ; fp8_utils_aot.py:74:33
	v_or_b32_e32 v34, v36, v34
	v_lshrrev_b32_e32 v36, 8, v122
	.loc	1 66 20                         ; fp8_utils_aot.py:66:20
	v_cndmask_b32_e64 v37, v247, v37, s[28:29]
	v_cmp_ne_u16_e64 s[28:29], 4, v40
	.loc	1 74 33                         ; fp8_utils_aot.py:74:33
	v_perm_b32 v157, v34, v38, s13
	.loc	1 66 20                         ; fp8_utils_aot.py:66:20
	v_cndmask_b32_e64 v39, v69, v78, s[26:27]
	v_cndmask_b32_e64 v37, v252, v37, s[28:29]
	v_cmp_ne_u16_e64 s[28:29], 5, v40
	v_cndmask_b32_e64 v34, v69, v86, s[36:37]
	.loc	1 74 33                         ; fp8_utils_aot.py:74:33
	v_or_b32_e32 v41, v39, v41
	.loc	1 66 20                         ; fp8_utils_aot.py:66:20
	v_cndmask_b32_e64 v37, v253, v37, s[28:29]
	v_cmp_ne_u16_e64 s[28:29], 6, v40
	v_lshlrev_b16_e32 v39, 7, v122
	v_and_b32_e32 v39, 0x3f80, v39
	v_cndmask_b32_e64 v64, v68, v37, s[28:29]
	v_cmp_ne_u16_e64 s[28:29], s33, v33
	.loc	1 74 33                         ; fp8_utils_aot.py:74:33
	v_or_b32_e32 v34, v34, v42
	.loc	1 66 20                         ; fp8_utils_aot.py:66:20
	v_and_b32_e32 v42, 0x7f, v122
	v_cndmask_b32_e64 v32, v244, v32, s[28:29]
	v_cmp_ne_u16_e64 s[28:29], 0, v33
	v_add_u16_e32 v39, 0x2000, v39
	v_cmp_ne_u16_e64 s[26:27], s33, v42
	v_cndmask_b32_e64 v32, 0, v32, s[28:29]
	v_cmp_ne_u16_e64 s[28:29], 1, v33
	v_cndmask_b32_e64 v39, v244, v39, s[26:27]
	;; [unrolled: 2-line block ×5, first 2 shown]
	v_cmp_ne_u16_e64 s[28:29], 3, v33
	v_lshlrev_b16_e32 v40, 8, v160
	v_cndmask_b32_e64 v39, v245, v39, s[26:27]
	v_cndmask_b32_e64 v32, v247, v32, s[28:29]
	v_cmp_ne_u16_e64 s[28:29], 4, v33
	v_cmp_ne_u16_e64 s[26:27], 2, v42
	.loc	1 74 33                         ; fp8_utils_aot.py:74:33
	v_and_b32_e32 v40, 0xffff8000, v40
	.loc	1 66 20                         ; fp8_utils_aot.py:66:20
	v_cndmask_b32_e64 v32, v252, v32, s[28:29]
	v_cmp_ne_u16_e64 s[28:29], 5, v33
	v_cndmask_b32_e64 v39, v246, v39, s[26:27]
	v_cmp_ne_u16_e64 s[26:27], 3, v42
	;; [unrolled: 2-line block ×4, first 2 shown]
	v_cndmask_b32_e64 v37, v68, v32, s[28:29]
	v_lshlrev_b16_e32 v32, 7, v36
	v_and_b32_e32 v32, 0x3f80, v32
	v_cmp_ne_u16_e64 s[28:29], 7, v33
	v_and_b32_e32 v33, 0x7f, v36
	v_add_u16_e32 v32, 0x2000, v32
	v_cmp_ne_u16_e64 s[34:35], s33, v33
	v_cndmask_b32_e64 v39, v252, v39, s[26:27]
	v_cmp_ne_u16_e64 s[26:27], 5, v42
	v_cndmask_b32_e64 v32, v244, v32, s[34:35]
	;; [unrolled: 2-line block ×5, first 2 shown]
	.loc	1 74 33                         ; fp8_utils_aot.py:74:33
	v_perm_b32 v161, v34, v41, s13
	.loc	1 66 20                         ; fp8_utils_aot.py:66:20
	v_cndmask_b32_e64 v32, v245, v32, s[34:35]
	v_cmp_ne_u16_e64 s[34:35], 2, v33
	v_cmp_ne_u16_e64 s[36:37], 7, v73
	v_cndmask_b32_e64 v78, v69, v186, s[18:19]
	v_cndmask_b32_e64 v32, v246, v32, s[34:35]
	v_cmp_ne_u16_e64 s[34:35], 3, v33
	v_cmp_ne_u16_e64 s[18:19], s33, v79
	v_and_b32_sdwa v86, v135, s33 dst_sel:DWORD dst_unused:UNUSED_PAD src0_sel:BYTE_3 src1_sel:DWORD
	v_cndmask_b32_e64 v32, v247, v32, s[34:35]
	v_cmp_ne_u16_e64 s[34:35], 4, v33
	v_cndmask_b32_e64 v64, v69, v64, s[90:91]
	v_lshlrev_b16_e32 v35, 8, v35
	v_cndmask_b32_e64 v32, v252, v32, s[34:35]
	v_cmp_ne_u16_e64 s[34:35], 5, v33
	v_cndmask_b32_e64 v37, v69, v37, s[28:29]
	.loc	1 71 42                         ; fp8_utils_aot.py:71:42
	s_mul_i32 s28, s99, s85
	.loc	1 66 20                         ; fp8_utils_aot.py:66:20
	v_cndmask_b32_e64 v32, v253, v32, s[34:35]
	v_cmp_ne_u16_e64 s[34:35], 6, v33
	.loc	1 74 33                         ; fp8_utils_aot.py:74:33
	v_and_b32_e32 v35, 0xffff8000, v35
	.loc	1 71 32                         ; fp8_utils_aot.py:71:32
	s_ashr_i32 s29, s28, 31
	.loc	1 66 20                         ; fp8_utils_aot.py:66:20
	v_cndmask_b32_e64 v38, v68, v32, s[34:35]
	v_lshlrev_b16_e32 v32, 7, v160
	v_cmp_ne_u16_e64 s[34:35], 7, v33
	v_and_b32_e32 v32, 0x3f80, v32
	v_and_b32_e32 v33, 0x7f, v160
	v_add_u16_e32 v32, 0x2000, v32
	v_cmp_ne_u16_e64 s[38:39], s33, v33
	.loc	1 74 33                         ; fp8_utils_aot.py:74:33
	v_or_b32_e32 v35, v37, v35
	.loc	1 71 32                         ; fp8_utils_aot.py:71:32
	s_lshl_b64 s[28:29], s[28:29], 2
	.loc	1 66 20                         ; fp8_utils_aot.py:66:20
	v_cndmask_b32_e64 v32, v244, v32, s[38:39]
	v_cmp_ne_u16_e64 s[38:39], 0, v33
	s_nop 1
	v_cndmask_b32_e64 v32, 0, v32, s[38:39]
	v_cmp_ne_u16_e64 s[38:39], 1, v33
	s_nop 1
	;; [unrolled: 3-line block ×7, first 2 shown]
	v_cndmask_b32_e64 v32, v68, v32, s[38:39]
	v_cmp_ne_u16_e64 s[38:39], 7, v33
	v_cndmask_b32_e64 v33, v69, v80, s[30:31]
	.loc	1 74 33                         ; fp8_utils_aot.py:74:33
	v_or_b32_e32 v33, v33, v65
	.loc	1 66 20                         ; fp8_utils_aot.py:66:20
	v_cndmask_b32_e64 v32, v69, v32, s[38:39]
	.loc	1 74 33                         ; fp8_utils_aot.py:74:33
	v_or_b32_e32 v32, v32, v40
	v_perm_b32 v160, v32, v33, s13
	.loc	1 66 20                         ; fp8_utils_aot.py:66:20
	v_lshlrev_b16_sdwa v32, v71, v122 dst_sel:DWORD dst_unused:UNUSED_PAD src0_sel:DWORD src1_sel:BYTE_3
	v_lshlrev_b16_sdwa v65, v71, v122 dst_sel:DWORD dst_unused:UNUSED_PAD src0_sel:DWORD src1_sel:WORD_1
	v_and_b32_e32 v32, 0x3f80, v32
	v_and_b32_sdwa v33, v122, s33 dst_sel:DWORD dst_unused:UNUSED_PAD src0_sel:BYTE_3 src1_sel:DWORD
	v_and_b32_e32 v65, 0x3f80, v65
	v_add_u16_e32 v32, 0x2000, v32
	v_cmp_ne_u16_e64 s[26:27], s33, v33
	v_add_u16_e32 v34, 0x2000, v65
	v_cndmask_b32_e64 v65, v69, v72, s[22:23]
	v_cndmask_b32_e64 v32, v244, v32, s[26:27]
	v_cmp_ne_u16_e64 s[26:27], s33, v73
	.loc	1 74 33                         ; fp8_utils_aot.py:74:33
	v_and_b32_e32 v72, 0xffff8000, v183
	v_or_b32_e32 v65, v65, v72
	.loc	1 66 20                         ; fp8_utils_aot.py:66:20
	v_cndmask_b32_e64 v34, v244, v34, s[26:27]
	v_cmp_ne_u16_e64 s[26:27], 0, v33
	v_lshlrev_b16_e32 v72, 7, v137
	v_and_b32_e32 v72, 0x3f80, v72
	v_cndmask_b32_e64 v32, 0, v32, s[26:27]
	v_cmp_ne_u16_e64 s[26:27], 0, v73
	v_add_u16_e32 v72, 0x2000, v72
	v_cmp_ne_u16_e64 s[30:31], 7, v33
	v_cndmask_b32_e64 v34, 0, v34, s[26:27]
	v_cmp_ne_u16_e64 s[26:27], 1, v33
	v_lshlrev_b16_sdwa v80, v71, v135 dst_sel:DWORD dst_unused:UNUSED_PAD src0_sel:DWORD src1_sel:BYTE_3
	v_and_b32_e32 v80, 0x3f80, v80
	v_cndmask_b32_e64 v32, v245, v32, s[26:27]
	v_cmp_ne_u16_e64 s[26:27], 1, v73
	v_add_u16_e32 v80, 0x2000, v80
	s_nop 0
	v_cndmask_b32_e64 v34, v245, v34, s[26:27]
	v_cmp_ne_u16_e64 s[26:27], 2, v33
	s_nop 1
	v_cndmask_b32_e64 v32, v246, v32, s[26:27]
	v_cmp_ne_u16_e64 s[26:27], 2, v73
	s_nop 1
	v_cndmask_b32_e64 v34, v246, v34, s[26:27]
	v_cmp_ne_u16_e64 s[26:27], 3, v33
	s_nop 1
	v_cndmask_b32_e64 v32, v247, v32, s[26:27]
	v_cmp_ne_u16_e64 s[26:27], 3, v73
	s_nop 1
	v_cndmask_b32_e64 v34, v247, v34, s[26:27]
	v_cmp_ne_u16_e64 s[26:27], 4, v33
	s_nop 1
	v_cndmask_b32_e64 v32, v252, v32, s[26:27]
	v_cmp_ne_u16_e64 s[26:27], 4, v73
	s_nop 1
	v_cndmask_b32_e64 v34, v252, v34, s[26:27]
	v_cmp_ne_u16_e64 s[26:27], 5, v33
	s_nop 1
	v_cndmask_b32_e64 v32, v253, v32, s[26:27]
	v_cmp_ne_u16_e64 s[26:27], 5, v73
	s_nop 1
	v_cndmask_b32_e64 v34, v253, v34, s[26:27]
	v_cmp_ne_u16_e64 s[26:27], 6, v33
	s_nop 1
	v_cndmask_b32_e64 v40, v68, v32, s[26:27]
	v_cmp_ne_u16_e64 s[26:27], 6, v73
	.loc	1 74 33                         ; fp8_utils_aot.py:74:33
	v_and_b32_e32 v73, 0xffff8000, v184
	.loc	1 66 20                         ; fp8_utils_aot.py:66:20
	s_nop 0
	v_cndmask_b32_e64 v41, v68, v34, s[26:27]
	v_cmp_ne_u16_e64 s[26:27], 7, v42
	v_lshrrev_b32_e32 v42, 8, v137
	v_cndmask_b32_e64 v34, v69, v187, s[20:21]
	v_cmp_ne_u16_e64 s[20:21], s33, v75
	v_lshlrev_b16_e32 v32, 7, v42
	v_and_b32_e32 v32, 0x3f80, v32
	v_cndmask_b32_e64 v72, v244, v72, s[20:21]
	v_cmp_ne_u16_e64 s[20:21], 0, v75
	v_and_b32_e32 v33, 0x7f, v42
	v_add_u16_e32 v32, 0x2000, v32
	v_cndmask_b32_e64 v72, 0, v72, s[20:21]
	v_cmp_ne_u16_e64 s[20:21], 1, v75
	v_cmp_ne_u16_e64 s[38:39], s33, v33
	.loc	1 74 33                         ; fp8_utils_aot.py:74:33
	v_or_b32_e32 v34, v34, v73
	.loc	1 66 20                         ; fp8_utils_aot.py:66:20
	v_cndmask_b32_e64 v72, v245, v72, s[20:21]
	v_cmp_ne_u16_e64 s[20:21], 2, v75
	v_cndmask_b32_e64 v32, v244, v32, s[38:39]
	v_cmp_ne_u16_e64 s[38:39], 0, v33
	;; [unrolled: 2-line block ×7, first 2 shown]
	.loc	1 74 33                         ; fp8_utils_aot.py:74:33
	v_and_b32_e32 v73, 0xffff8000, v163
	v_perm_b32 v163, v34, v65, s13
	.loc	1 66 20                         ; fp8_utils_aot.py:66:20
	v_lshlrev_b16_sdwa v34, v71, v137 dst_sel:DWORD dst_unused:UNUSED_PAD src0_sel:DWORD src1_sel:BYTE_3
	v_cndmask_b32_e64 v32, v246, v32, s[38:39]
	v_cmp_ne_u16_e64 s[38:39], 3, v33
	v_cndmask_b32_e64 v72, v253, v72, s[20:21]
	v_cmp_ne_u16_e64 s[20:21], 6, v75
	v_and_b32_sdwa v65, v137, s33 dst_sel:DWORD dst_unused:UNUSED_PAD src0_sel:BYTE_3 src1_sel:DWORD
	v_and_b32_e32 v34, 0x3f80, v34
	v_cndmask_b32_e64 v32, v247, v32, s[38:39]
	v_cmp_ne_u16_e64 s[38:39], 4, v33
	v_cndmask_b32_e64 v89, v68, v72, s[20:21]
	v_add_u16_e32 v34, 0x2000, v34
	v_cmp_ne_u16_e64 s[20:21], s33, v65
	v_cndmask_b32_e64 v32, v252, v32, s[38:39]
	v_cmp_ne_u16_e64 s[38:39], 5, v33
	v_cndmask_b32_e64 v34, v244, v34, s[20:21]
	;; [unrolled: 2-line block ×5, first 2 shown]
	v_lshlrev_b16_e32 v32, 7, v162
	v_cndmask_b32_e64 v34, v245, v34, s[20:21]
	v_cmp_ne_u16_e64 s[20:21], 2, v65
	v_cmp_ne_u16_e64 s[38:39], 7, v33
	v_and_b32_e32 v32, 0x3f80, v32
	v_and_b32_e32 v33, 0x7f, v162
	v_cndmask_b32_e64 v34, v246, v34, s[20:21]
	v_cmp_ne_u16_e64 s[20:21], 3, v65
	v_add_u16_e32 v32, 0x2000, v32
	v_cmp_ne_u16_e64 s[40:41], s33, v33
	v_cndmask_b32_e64 v34, v247, v34, s[20:21]
	v_cmp_ne_u16_e64 s[20:21], 4, v65
	v_cndmask_b32_e64 v32, v244, v32, s[40:41]
	;; [unrolled: 2-line block ×7, first 2 shown]
	v_lshlrev_b16_e32 v34, 7, v164
	v_cndmask_b32_e64 v32, v246, v32, s[40:41]
	v_cmp_ne_u16_e64 s[40:41], 3, v33
	v_cmp_ne_u16_e64 s[20:21], 7, v65
	v_and_b32_e32 v34, 0x3f80, v34
	v_and_b32_e32 v65, 0x7f, v164
	v_cndmask_b32_e64 v32, v247, v32, s[40:41]
	v_cmp_ne_u16_e64 s[40:41], 4, v33
	v_add_u16_e32 v34, 0x2000, v34
	v_cmp_ne_u16_e64 s[22:23], s33, v65
	v_cndmask_b32_e64 v32, v252, v32, s[40:41]
	v_cmp_ne_u16_e64 s[40:41], 5, v33
	v_cndmask_b32_e64 v34, v244, v34, s[22:23]
	;; [unrolled: 2-line block ×5, first 2 shown]
	v_cmp_ne_u16_e64 s[40:41], 7, v33
	v_lshlrev_b16_e32 v72, 8, v162
	v_cndmask_b32_e64 v34, v245, v34, s[22:23]
	v_cmp_ne_u16_e64 s[22:23], 2, v65
	v_cndmask_b32_e64 v32, v69, v32, s[40:41]
	v_cndmask_b32_e64 v33, v69, v182, s[94:95]
	.loc	1 74 33                         ; fp8_utils_aot.py:74:33
	v_and_b32_e32 v72, 0xffff8000, v72
	.loc	1 66 20                         ; fp8_utils_aot.py:66:20
	v_cndmask_b32_e64 v34, v246, v34, s[22:23]
	v_cmp_ne_u16_e64 s[22:23], 3, v65
	.loc	1 74 33                         ; fp8_utils_aot.py:74:33
	v_or_b32_e32 v33, v33, v73
	v_or_b32_e32 v32, v32, v72
	.loc	1 66 20                         ; fp8_utils_aot.py:66:20
	v_cndmask_b32_e64 v34, v247, v34, s[22:23]
	v_cmp_ne_u16_e64 s[22:23], 4, v65
	.loc	1 74 33                         ; fp8_utils_aot.py:74:33
	v_perm_b32 v162, v32, v33, s13
	.loc	1 66 20                         ; fp8_utils_aot.py:66:20
	v_lshlrev_b16_sdwa v32, v71, v137 dst_sel:DWORD dst_unused:UNUSED_PAD src0_sel:DWORD src1_sel:WORD_1
	v_cndmask_b32_e64 v34, v252, v34, s[22:23]
	v_cmp_ne_u16_e64 s[22:23], 5, v65
	v_and_b32_sdwa v33, v137, s33 dst_sel:DWORD dst_unused:UNUSED_PAD src0_sel:WORD_1 src1_sel:DWORD
	v_and_b32_e32 v32, 0x3f80, v32
	v_cndmask_b32_e64 v34, v253, v34, s[22:23]
	v_cmp_ne_u16_e64 s[22:23], 6, v65
	v_add_u16_e32 v32, 0x2000, v32
	v_lshlrev_b16_e32 v73, 8, v137
	v_cndmask_b32_e64 v34, v68, v34, s[22:23]
	v_cmp_ne_u16_e64 s[22:23], 7, v65
	v_cndmask_b32_e64 v65, v69, v185, s[16:17]
	v_cmp_ne_u16_e64 s[16:17], s33, v33
	;; [unrolled: 2-line block ×18, first 2 shown]
	v_lshlrev_b16_e32 v33, 7, v92
	v_and_b32_e32 v33, 0x3f80, v33
	v_add_u16_e32 v33, 0x2000, v33
	v_cndmask_b32_e64 v33, v244, v33, s[18:19]
	v_cmp_ne_u16_e64 s[18:19], 0, v79
	.loc	1 74 33                         ; fp8_utils_aot.py:74:33
	v_and_b32_e32 v32, 0xffff8000, v181
	v_or_b32_e32 v32, v78, v32
	.loc	1 66 20                         ; fp8_utils_aot.py:66:20
	v_cndmask_b32_e64 v33, 0, v33, s[18:19]
	v_cmp_ne_u16_e64 s[18:19], 1, v79
	.loc	1 74 33                         ; fp8_utils_aot.py:74:33
	v_and_b32_e32 v78, 0xffff8000, v180
	v_or_b32_e32 v78, v74, v78
	.loc	1 66 20                         ; fp8_utils_aot.py:66:20
	v_cndmask_b32_e64 v33, v245, v33, s[18:19]
	v_cmp_ne_u16_e64 s[18:19], 2, v79
	.loc	1 74 33                         ; fp8_utils_aot.py:74:33
	v_and_b32_e32 v74, 0xffff8000, v165
	v_perm_b32 v165, v78, v32, s13
	.loc	1 66 20                         ; fp8_utils_aot.py:66:20
	v_cndmask_b32_e64 v33, v246, v33, s[18:19]
	v_cmp_ne_u16_e64 s[18:19], 3, v79
	v_and_b32_e32 v32, 0x7f, v135
	v_cndmask_b32_e64 v81, v68, v81, s[22:23]
	v_cndmask_b32_e64 v33, v247, v33, s[18:19]
	v_cmp_ne_u16_e64 s[18:19], 4, v79
	v_cmp_ne_u16_e64 s[22:23], 7, v178
	.loc	1 74 33                         ; fp8_utils_aot.py:74:33
	v_or_b32_e32 v65, v65, v74
	.loc	1 66 20                         ; fp8_utils_aot.py:66:20
	v_cndmask_b32_e64 v33, v252, v33, s[18:19]
	v_cmp_ne_u16_e64 s[18:19], 5, v79
	v_cndmask_b32_e64 v81, v69, v81, s[22:23]
	v_cmp_ne_u16_e64 s[22:23], s33, v32
	;; [unrolled: 2-line block ×3, first 2 shown]
	.loc	1 74 33                         ; fp8_utils_aot.py:74:33
	v_or_b32_e32 v81, v81, v94
	.loc	1 66 20                         ; fp8_utils_aot.py:66:20
	v_lshlrev_b16_sdwa v72, v70, v137 dst_sel:DWORD dst_unused:UNUSED_PAD src0_sel:DWORD src1_sel:WORD_1
	v_cndmask_b32_e64 v93, v68, v33, s[18:19]
	v_lshlrev_b16_e32 v33, 8, v164
	.loc	1 74 33                         ; fp8_utils_aot.py:74:33
	v_and_b32_e32 v33, 0xffff8000, v33
	v_or_b32_e32 v33, v34, v33
	.loc	1 66 20                         ; fp8_utils_aot.py:66:20
	v_lshlrev_b16_e32 v34, 7, v135
	v_and_b32_e32 v34, 0x3f80, v34
	v_add_u16_e32 v34, 0x2000, v34
	v_cndmask_b32_e64 v34, v244, v34, s[22:23]
	v_cmp_ne_u16_e64 s[22:23], 0, v32
	.loc	1 74 33                         ; fp8_utils_aot.py:74:33
	v_perm_b32 v164, v33, v65, s13
	.loc	1 66 20                         ; fp8_utils_aot.py:66:20
	v_lshlrev_b16_sdwa v33, v71, v135 dst_sel:DWORD dst_unused:UNUSED_PAD src0_sel:DWORD src1_sel:WORD_1
	v_cndmask_b32_e64 v34, 0, v34, s[22:23]
	v_cmp_ne_u16_e64 s[22:23], 1, v32
	v_and_b32_sdwa v65, v135, s33 dst_sel:DWORD dst_unused:UNUSED_PAD src0_sel:WORD_1 src1_sel:DWORD
	v_and_b32_e32 v33, 0x3f80, v33
	v_cndmask_b32_e64 v34, v245, v34, s[22:23]
	v_cmp_ne_u16_e64 s[22:23], 2, v32
	v_add_u16_e32 v33, 0x2000, v33
	v_cmp_ne_u16_e64 s[92:93], 7, v65
	v_cndmask_b32_e64 v34, v246, v34, s[22:23]
	v_cmp_ne_u16_e64 s[22:23], 3, v32
	v_cmp_ne_u16_e64 s[94:95], 7, v75
	v_lshlrev_b16_sdwa v75, v70, v137 dst_sel:DWORD dst_unused:UNUSED_PAD src0_sel:DWORD src1_sel:BYTE_3
	v_cndmask_b32_e64 v34, v247, v34, s[22:23]
	v_cmp_ne_u16_e64 s[22:23], 4, v32
	v_cndmask_b32_e64 v137, v69, v57, s[76:77]
	.loc	1 74 33                         ; fp8_utils_aot.py:74:33
	v_and_b32_e32 v57, 0xffff8000, v170
	.loc	1 66 20                         ; fp8_utils_aot.py:66:20
	v_cndmask_b32_e64 v34, v252, v34, s[22:23]
	v_cmp_ne_u16_e64 s[22:23], 5, v32
	v_lshlrev_b16_e32 v74, 8, v135
	v_lshlrev_b16_sdwa v78, v70, v135 dst_sel:DWORD dst_unused:UNUSED_PAD src0_sel:DWORD src1_sel:WORD_1
	v_cndmask_b32_e64 v34, v253, v34, s[22:23]
	v_cmp_ne_u16_e64 s[22:23], 6, v32
	v_cmp_ne_u16_e64 s[18:19], 7, v79
	v_lshlrev_b16_sdwa v79, v70, v135 dst_sel:DWORD dst_unused:UNUSED_PAD src0_sel:DWORD src1_sel:BYTE_3
	v_cndmask_b32_e64 v94, v68, v34, s[22:23]
	v_cmp_ne_u16_e64 s[22:23], 7, v32
	v_lshlrev_b16_e32 v32, 7, v166
	v_and_b32_e32 v32, 0x3f80, v32
	v_and_b32_e32 v34, 0x7f, v166
	v_add_u16_e32 v32, 0x2000, v32
	v_cmp_ne_u16_e64 s[24:25], s33, v34
	v_lshlrev_b16_e32 v135, 8, v168
	.loc	1 67 20                         ; fp8_utils_aot.py:67:20
	ds_read2_b32 v[178:179], v231 offset1:16
	.loc	1 66 20                         ; fp8_utils_aot.py:66:20
	v_cndmask_b32_e64 v32, v244, v32, s[24:25]
	v_cmp_ne_u16_e64 s[24:25], 0, v34
	.loc	1 67 20                         ; fp8_utils_aot.py:67:20
	ds_read2_b32 v[180:181], v232 offset1:16
	ds_read2_b32 v[182:183], v233 offset1:16
	.loc	1 66 20                         ; fp8_utils_aot.py:66:20
	v_cndmask_b32_e64 v32, 0, v32, s[24:25]
	v_cmp_ne_u16_e64 s[24:25], 1, v34
	.loc	1 67 20                         ; fp8_utils_aot.py:67:20
	ds_read2_b32 v[184:185], v236 offset1:16
	s_waitcnt lgkmcnt(2)
	v_lshrrev_b32_e32 v54, 8, v180
	.loc	1 66 20                         ; fp8_utils_aot.py:66:20
	v_cndmask_b32_e64 v32, v245, v32, s[24:25]
	v_cmp_ne_u16_e64 s[24:25], 2, v34
	.loc	1 67 20                         ; fp8_utils_aot.py:67:20
	v_lshlrev_b16_e32 v105, 7, v54
	v_and_b32_e32 v105, 0x3f80, v105
	.loc	1 66 20                         ; fp8_utils_aot.py:66:20
	v_cndmask_b32_e64 v32, v246, v32, s[24:25]
	v_cmp_ne_u16_e64 s[24:25], 3, v34
	.loc	1 67 20                         ; fp8_utils_aot.py:67:20
	s_waitcnt lgkmcnt(0)
	v_lshlrev_b16_sdwa v62, v71, v184 dst_sel:DWORD dst_unused:UNUSED_PAD src0_sel:DWORD src1_sel:WORD_1
	v_and_b32_e32 v62, 0x3f80, v62
	.loc	1 66 20                         ; fp8_utils_aot.py:66:20
	v_cndmask_b32_e64 v32, v247, v32, s[24:25]
	v_cmp_ne_u16_e64 s[24:25], 4, v34
	.loc	1 67 20                         ; fp8_utils_aot.py:67:20
	ds_read2_b32 v[186:187], v237 offset1:16
	.loc	1 74 33                         ; fp8_utils_aot.py:74:33
	v_and_b32_e32 v72, 0xffff8000, v72
	.loc	1 66 20                         ; fp8_utils_aot.py:66:20
	v_cndmask_b32_e64 v32, v252, v32, s[24:25]
	v_cmp_ne_u16_e64 s[24:25], 5, v34
	s_nop 1
	v_cndmask_b32_e64 v32, v253, v32, s[24:25]
	v_cmp_ne_u16_e64 s[24:25], 6, v34
	s_nop 1
	v_cndmask_b32_e64 v32, v68, v32, s[24:25]
	v_cmp_ne_u16_e64 s[24:25], 7, v34
	v_cndmask_b32_e64 v34, v69, v175, s[10:11]
	v_cmp_ne_u16_e64 s[10:11], s33, v86
	v_cndmask_b32_e64 v32, v69, v32, s[24:25]
	v_cmp_ne_u16_e64 s[24:25], s33, v65
	v_cndmask_b32_e64 v80, v244, v80, s[10:11]
	v_cmp_ne_u16_e64 s[10:11], 0, v86
	v_cndmask_b32_e64 v33, v244, v33, s[24:25]
	v_cmp_ne_u16_e64 s[24:25], 0, v65
	v_cndmask_b32_e64 v80, 0, v80, s[10:11]
	v_cmp_ne_u16_e64 s[10:11], 1, v86
	v_cndmask_b32_e64 v33, 0, v33, s[24:25]
	v_cmp_ne_u16_e64 s[24:25], 1, v65
	v_cndmask_b32_e64 v80, v245, v80, s[10:11]
	v_cmp_ne_u16_e64 s[10:11], 2, v86
	v_cndmask_b32_e64 v33, v245, v33, s[24:25]
	v_cmp_ne_u16_e64 s[24:25], 2, v65
	v_cndmask_b32_e64 v80, v246, v80, s[10:11]
	v_cmp_ne_u16_e64 s[10:11], 3, v86
	v_cndmask_b32_e64 v33, v246, v33, s[24:25]
	v_cmp_ne_u16_e64 s[24:25], 3, v65
	v_cndmask_b32_e64 v80, v247, v80, s[10:11]
	v_cmp_ne_u16_e64 s[10:11], 4, v86
	v_cndmask_b32_e64 v33, v247, v33, s[24:25]
	v_cmp_ne_u16_e64 s[24:25], 4, v65
	v_cndmask_b32_e64 v80, v252, v80, s[10:11]
	v_cmp_ne_u16_e64 s[10:11], 5, v86
	v_cndmask_b32_e64 v33, v252, v33, s[24:25]
	v_cmp_ne_u16_e64 s[24:25], 5, v65
	v_cndmask_b32_e64 v80, v253, v80, s[10:11]
	v_cmp_ne_u16_e64 s[10:11], 6, v86
	v_cndmask_b32_e64 v33, v253, v33, s[24:25]
	v_cmp_ne_u16_e64 s[24:25], 6, v65
	v_cndmask_b32_e64 v96, v68, v80, s[10:11]
	.loc	1 74 33                         ; fp8_utils_aot.py:74:33
	v_and_b32_e32 v80, 0xffff8000, v174
	v_or_b32_e32 v98, v97, v80
	v_lshrrev_b32_e32 v97, 8, v133
	v_and_b32_e32 v80, 0xffff8000, v167
	v_perm_b32 v167, v98, v81, s13
	.loc	1 66 20                         ; fp8_utils_aot.py:66:20
	v_cndmask_b32_e64 v98, v68, v33, s[24:25]
	v_lshlrev_b16_e32 v33, 7, v97
	v_and_b32_e32 v33, 0x3f80, v33
	v_and_b32_e32 v65, 0x7f, v97
	v_add_u16_e32 v33, 0x2000, v33
	v_cmp_ne_u16_e64 s[24:25], s33, v65
	.loc	1 74 33                         ; fp8_utils_aot.py:74:33
	v_or_b32_e32 v34, v34, v80
	v_or_b32_e32 v32, v32, v99
	.loc	1 66 20                         ; fp8_utils_aot.py:66:20
	v_cndmask_b32_e64 v33, v244, v33, s[24:25]
	v_cmp_ne_u16_e64 s[24:25], 0, v65
	.loc	1 74 33                         ; fp8_utils_aot.py:74:33
	v_perm_b32 v166, v32, v34, s13
	.loc	1 66 20                         ; fp8_utils_aot.py:66:20
	v_and_b32_e32 v32, 0x7f, v133
	v_cndmask_b32_e64 v33, 0, v33, s[24:25]
	v_cmp_ne_u16_e64 s[24:25], 1, v65
	v_cmp_ne_u16_e64 s[40:41], s33, v32
	v_lshlrev_b16_sdwa v34, v71, v133 dst_sel:DWORD dst_unused:UNUSED_PAD src0_sel:DWORD src1_sel:WORD_1
	v_cndmask_b32_e64 v33, v245, v33, s[24:25]
	v_cmp_ne_u16_e64 s[24:25], 2, v65
	v_lshlrev_b16_e32 v80, 8, v133
	v_lshlrev_b16_sdwa v81, v70, v133 dst_sel:DWORD dst_unused:UNUSED_PAD src0_sel:DWORD src1_sel:WORD_1
	v_cndmask_b32_e64 v33, v246, v33, s[24:25]
	v_cmp_ne_u16_e64 s[24:25], 3, v65
	v_cmp_ne_u16_e64 s[10:11], 7, v86
	v_lshlrev_b16_sdwa v86, v70, v133 dst_sel:DWORD dst_unused:UNUSED_PAD src0_sel:DWORD src1_sel:BYTE_3
	v_cndmask_b32_e64 v33, v247, v33, s[24:25]
	v_cmp_ne_u16_e64 s[24:25], 4, v65
	v_cndmask_b32_e64 v133, v69, v44, s[68:69]
	.loc	1 74 33                         ; fp8_utils_aot.py:74:33
	v_and_b32_e32 v44, 0xffff8000, v171
	.loc	1 66 20                         ; fp8_utils_aot.py:66:20
	v_cndmask_b32_e64 v33, v252, v33, s[24:25]
	v_cmp_ne_u16_e64 s[24:25], 5, v65
	s_nop 1
	v_cndmask_b32_e64 v33, v253, v33, s[24:25]
	v_cmp_ne_u16_e64 s[24:25], 6, v65
	s_nop 1
	v_cndmask_b32_e64 v99, v68, v33, s[24:25]
	v_and_b32_e32 v33, 0x3f80, v100
	v_add_u16_e32 v33, 0x2000, v33
	v_cndmask_b32_e64 v33, v244, v33, s[40:41]
	v_cmp_ne_u16_e64 s[40:41], 0, v32
	v_cmp_ne_u16_e64 s[24:25], 7, v65
	v_cndmask_b32_e64 v65, v69, v134, s[56:57]
	v_cndmask_b32_e64 v33, 0, v33, s[40:41]
	v_cmp_ne_u16_e64 s[40:41], 1, v32
	v_cndmask_b32_e64 v134, v69, v58, s[78:79]
	v_lshlrev_b16_e32 v58, 8, v159
	v_cndmask_b32_e64 v33, v245, v33, s[40:41]
	v_cmp_ne_u16_e64 s[40:41], 2, v32
	.loc	1 74 33                         ; fp8_utils_aot.py:74:33
	v_or_b32_e32 v44, v65, v44
	v_and_b32_e32 v65, 0xffff8000, v169
	.loc	1 66 20                         ; fp8_utils_aot.py:66:20
	v_cndmask_b32_e64 v33, v246, v33, s[40:41]
	v_cmp_ne_u16_e64 s[40:41], 3, v32
	.loc	1 74 33                         ; fp8_utils_aot.py:74:33
	v_and_b32_e32 v58, 0xffff8000, v58
	.loc	1 66 20                         ; fp8_utils_aot.py:66:20
	s_nop 0
	v_cndmask_b32_e64 v33, v247, v33, s[40:41]
	v_cmp_ne_u16_e64 s[40:41], 4, v32
	s_nop 1
	v_cndmask_b32_e64 v33, v252, v33, s[40:41]
	v_cmp_ne_u16_e64 s[40:41], 5, v32
	;; [unrolled: 3-line block ×4, first 2 shown]
	v_and_b32_e32 v32, 0x3f80, v101
	v_add_u16_e32 v32, 0x2000, v32
	v_cndmask_b32_e64 v32, v244, v32, s[42:43]
	v_cmp_ne_u16_e64 s[42:43], 0, v102
	v_and_b32_e32 v33, 0x7f, v159
	v_cmp_ne_u16_e64 s[96:97], s33, v33
	v_cndmask_b32_e64 v32, 0, v32, s[42:43]
	v_cmp_ne_u16_e64 s[42:43], 1, v102
	s_nop 1
	v_cndmask_b32_e64 v32, v245, v32, s[42:43]
	v_cmp_ne_u16_e64 s[42:43], 2, v102
	s_nop 1
	;; [unrolled: 3-line block ×6, first 2 shown]
	v_cndmask_b32_e64 v101, v68, v32, s[42:43]
	v_and_b32_e32 v32, 0x3f80, v34
	v_add_u16_e32 v32, 0x2000, v32
	v_cndmask_b32_e64 v32, v244, v32, s[44:45]
	v_cmp_ne_u16_e64 s[44:45], 0, v104
	v_cmp_ne_u16_e64 s[42:43], 7, v102
	v_cndmask_b32_e64 v34, v69, v173, s[8:9]
	v_cndmask_b32_e64 v32, 0, v32, s[44:45]
	v_cmp_ne_u16_e64 s[44:45], 1, v104
	.loc	1 74 33                         ; fp8_utils_aot.py:74:33
	v_or_b32_e32 v34, v34, v57
	v_perm_b32 v171, v34, v44, s13
	.loc	1 66 20                         ; fp8_utils_aot.py:66:20
	v_cndmask_b32_e64 v32, v245, v32, s[44:45]
	v_cmp_ne_u16_e64 s[44:45], 2, v104
	v_lshlrev_b16_e32 v57, 8, v130
	.loc	1 74 33                         ; fp8_utils_aot.py:74:33
	v_and_b32_e32 v57, 0xffff8000, v57
	.loc	1 66 20                         ; fp8_utils_aot.py:66:20
	v_cndmask_b32_e64 v32, v246, v32, s[44:45]
	v_cmp_ne_u16_e64 s[44:45], 3, v104
	s_nop 1
	v_cndmask_b32_e64 v32, v247, v32, s[44:45]
	v_cmp_ne_u16_e64 s[44:45], 4, v104
	s_nop 1
	v_cndmask_b32_e64 v32, v252, v32, s[44:45]
	v_cmp_ne_u16_e64 s[44:45], 5, v104
	s_nop 1
	v_cndmask_b32_e64 v32, v253, v32, s[44:45]
	v_cmp_ne_u16_e64 s[44:45], 6, v104
	s_nop 1
	v_cndmask_b32_e64 v102, v68, v32, s[44:45]
	v_lshlrev_b16_e32 v32, 7, v159
	v_and_b32_e32 v32, 0x3f80, v32
	v_add_u16_e32 v32, 0x2000, v32
	v_cndmask_b32_e64 v32, v244, v32, s[96:97]
	v_cmp_ne_u16_e64 s[96:97], 0, v33
	v_cmp_ne_u16_e64 s[44:45], 7, v104
	v_lshrrev_b32_e32 v104, 8, v131
	v_cndmask_b32_e64 v32, 0, v32, s[96:97]
	v_cmp_ne_u16_e64 s[96:97], 1, v33
	s_nop 1
	v_cndmask_b32_e64 v32, v245, v32, s[96:97]
	v_cmp_ne_u16_e64 s[96:97], 2, v33
	s_nop 1
	;; [unrolled: 3-line block ×6, first 2 shown]
	v_cndmask_b32_e64 v32, v68, v32, s[96:97]
	v_cmp_ne_u16_e64 s[96:97], 7, v33
	v_cndmask_b32_e32 v33, v69, v172, vcc
	.loc	1 74 33                         ; fp8_utils_aot.py:74:33
	v_or_b32_e32 v33, v33, v65
	.loc	1 66 20                         ; fp8_utils_aot.py:66:20
	v_cndmask_b32_e64 v32, v69, v32, s[96:97]
	.loc	1 74 33                         ; fp8_utils_aot.py:74:33
	v_or_b32_e32 v32, v32, v58
	v_perm_b32 v170, v32, v33, s13
	.loc	1 66 20                         ; fp8_utils_aot.py:66:20
	v_lshlrev_b16_e32 v32, 7, v104
	v_and_b32_e32 v32, 0x3f80, v32
	v_and_b32_e32 v33, 0x7f, v104
	v_add_u16_e32 v32, 0x2000, v32
	v_cmp_ne_u16_e32 vcc, s33, v33
	v_lshlrev_b16_sdwa v65, v70, v130 dst_sel:DWORD dst_unused:UNUSED_PAD src0_sel:DWORD src1_sel:WORD_1
	v_lshlrev_b16_sdwa v58, v70, v130 dst_sel:DWORD dst_unused:UNUSED_PAD src0_sel:DWORD src1_sel:BYTE_3
	v_cndmask_b32_e32 v32, v244, v32, vcc
	v_cmp_ne_u16_e32 vcc, 0, v33
	v_lshlrev_b16_e32 v130, 7, v131
	.loc	1 74 33                         ; fp8_utils_aot.py:74:33
	v_and_b32_e32 v58, 0xffff8000, v58
	.loc	1 66 20                         ; fp8_utils_aot.py:66:20
	v_cndmask_b32_e32 v32, 0, v32, vcc
	v_cmp_ne_u16_e32 vcc, 1, v33
	s_nop 1
	v_cndmask_b32_e32 v32, v245, v32, vcc
	v_cmp_ne_u16_e32 vcc, 2, v33
	s_nop 1
	;; [unrolled: 3-line block ×6, first 2 shown]
	v_cndmask_b32_e32 v44, v68, v32, vcc
	v_cmp_ne_u16_e32 vcc, 7, v33
	.loc	1 74 33                         ; fp8_utils_aot.py:74:33
	v_and_b32_e32 v33, 0xffff8000, v150
	v_or_b32_e32 v34, v137, v33
	v_and_b32_e32 v33, 0xffff8000, v55
	v_or_b32_e32 v55, v134, v33
	;; [unrolled: 2-line block ×4, first 2 shown]
	.loc	1 66 20                         ; fp8_utils_aot.py:66:20
	v_and_b32_e32 v134, 0x7f, v131
	.loc	1 74 33                         ; fp8_utils_aot.py:74:33
	v_perm_b32 v172, v52, v45, s13
	.loc	1 66 20                         ; fp8_utils_aot.py:66:20
	v_and_b32_e32 v45, 0x3f80, v130
	v_add_u16_e32 v45, 0x2000, v45
	v_cmp_ne_u16_e64 s[8:9], s33, v134
	v_lshlrev_b16_e32 v130, 7, v158
	v_and_b32_e32 v130, 0x3f80, v130
	v_cndmask_b32_e64 v45, v244, v45, s[8:9]
	v_cmp_ne_u16_e64 s[8:9], 0, v134
	v_add_u16_e32 v130, 0x2000, v130
	.loc	1 74 33                         ; fp8_utils_aot.py:74:33
	v_perm_b32 v173, v55, v34, s13
	.loc	1 66 20                         ; fp8_utils_aot.py:66:20
	v_cndmask_b32_e64 v45, 0, v45, s[8:9]
	v_cmp_ne_u16_e64 s[8:9], 1, v134
	v_lshlrev_b16_sdwa v55, v71, v131 dst_sel:DWORD dst_unused:UNUSED_PAD src0_sel:DWORD src1_sel:BYTE_3
	v_lshlrev_b16_e32 v32, 8, v131
	v_cndmask_b32_e64 v45, v245, v45, s[8:9]
	v_cmp_ne_u16_e64 s[8:9], 2, v134
	v_lshlrev_b16_sdwa v33, v70, v131 dst_sel:DWORD dst_unused:UNUSED_PAD src0_sel:DWORD src1_sel:WORD_1
	v_lshlrev_b16_sdwa v133, v71, v131 dst_sel:DWORD dst_unused:UNUSED_PAD src0_sel:DWORD src1_sel:WORD_1
	v_cndmask_b32_e64 v45, v246, v45, s[8:9]
	v_cmp_ne_u16_e64 s[8:9], 3, v134
	v_and_b32_sdwa v52, v131, s33 dst_sel:DWORD dst_unused:UNUSED_PAD src0_sel:WORD_1 src1_sel:DWORD
	v_lshlrev_b16_sdwa v34, v70, v131 dst_sel:DWORD dst_unused:UNUSED_PAD src0_sel:DWORD src1_sel:BYTE_3
	v_cndmask_b32_e64 v45, v247, v45, s[8:9]
	v_cmp_ne_u16_e64 s[8:9], 4, v134
	v_and_b32_sdwa v131, v131, s33 dst_sel:DWORD dst_unused:UNUSED_PAD src0_sel:BYTE_3 src1_sel:DWORD
	v_cndmask_b32_e64 v137, v69, v48, s[62:63]
	v_cndmask_b32_e64 v45, v252, v45, s[8:9]
	v_cmp_ne_u16_e64 s[8:9], 5, v134
	v_cndmask_b32_e64 v48, v69, v50, s[66:67]
	v_and_b32_e32 v50, 0x3f80, v55
	v_cndmask_b32_e64 v45, v253, v45, s[8:9]
	v_cmp_ne_u16_e64 s[8:9], 6, v134
	v_add_u16_e32 v50, 0x2000, v50
	v_lshlrev_b16_e32 v135, 8, v158
	v_cndmask_b32_e64 v45, v68, v45, s[8:9]
	v_cmp_ne_u16_e64 s[8:9], 7, v134
	v_and_b32_e32 v134, 0x7f, v158
	v_cmp_ne_u16_e64 s[56:57], s33, v134
	.loc	1 74 33                         ; fp8_utils_aot.py:74:33
	v_and_b32_e32 v32, 0xffff8000, v32
	v_and_b32_e32 v34, 0xffff8000, v34
	.loc	1 66 20                         ; fp8_utils_aot.py:66:20
	v_cndmask_b32_e64 v130, v244, v130, s[56:57]
	v_cmp_ne_u16_e64 s[56:57], 0, v134
	.loc	1 74 33                         ; fp8_utils_aot.py:74:33
	v_and_b32_e32 v33, 0xffff8000, v33
	.loc	1 66 20                         ; fp8_utils_aot.py:66:20
	s_nop 0
	v_cndmask_b32_e64 v130, 0, v130, s[56:57]
	v_cmp_ne_u16_e64 s[56:57], 1, v134
	s_nop 1
	v_cndmask_b32_e64 v130, v245, v130, s[56:57]
	v_cmp_ne_u16_e64 s[56:57], 2, v134
	s_nop 1
	v_cndmask_b32_e64 v130, v246, v130, s[56:57]
	v_cmp_ne_u16_e64 s[56:57], 3, v134
	s_nop 1
	v_cndmask_b32_e64 v130, v247, v130, s[56:57]
	v_cmp_ne_u16_e64 s[56:57], 4, v134
	s_nop 1
	v_cndmask_b32_e64 v130, v252, v130, s[56:57]
	v_cmp_ne_u16_e64 s[56:57], 5, v134
	s_nop 1
	v_cndmask_b32_e64 v130, v253, v130, s[56:57]
	v_cmp_ne_u16_e64 s[56:57], 6, v134
	s_nop 1
	v_cndmask_b32_e64 v130, v68, v130, s[56:57]
	v_cmp_ne_u16_e64 s[56:57], 7, v134
	v_cndmask_b32_e64 v134, v69, v47, s[60:61]
	v_and_b32_e32 v47, 0x3f80, v133
	v_cndmask_b32_e64 v130, v69, v130, s[56:57]
	v_cmp_ne_u16_e64 s[56:57], s33, v131
	v_add_u16_e32 v47, 0x2000, v47
	v_cmp_ne_u16_e64 s[60:61], 6, v52
	v_cndmask_b32_e64 v50, v244, v50, s[56:57]
	v_cmp_ne_u16_e64 s[56:57], s33, v52
	.loc	1 74 33                         ; fp8_utils_aot.py:74:33
	v_or_b32_e32 v132, v134, v132
	v_and_b32_e32 v134, 0xffff8000, v135
	.loc	1 66 20                         ; fp8_utils_aot.py:66:20
	v_cndmask_b32_e64 v47, v244, v47, s[56:57]
	v_cmp_ne_u16_e64 s[56:57], 0, v131
	.loc	1 74 33                         ; fp8_utils_aot.py:74:33
	v_or_b32_e32 v130, v130, v134
	.loc	1 67 20                         ; fp8_utils_aot.py:67:20
	v_lshlrev_b16_sdwa v134, v71, v178 dst_sel:DWORD dst_unused:UNUSED_PAD src0_sel:DWORD src1_sel:BYTE_3
	.loc	1 66 20                         ; fp8_utils_aot.py:66:20
	v_cndmask_b32_e64 v50, 0, v50, s[56:57]
	v_cmp_ne_u16_e64 s[56:57], 0, v52
	.loc	1 67 20                         ; fp8_utils_aot.py:67:20
	v_and_b32_e32 v134, 0x3f80, v134
	v_add_u16_e32 v134, 0x2000, v134
	.loc	1 66 20                         ; fp8_utils_aot.py:66:20
	v_cndmask_b32_e64 v47, 0, v47, s[56:57]
	v_cmp_ne_u16_e64 s[56:57], 1, v131
	.loc	1 74 33                         ; fp8_utils_aot.py:74:33
	v_perm_b32 v176, v130, v132, s13
	.loc	1 67 20                         ; fp8_utils_aot.py:67:20
	v_lshlrev_b16_sdwa v133, v71, v178 dst_sel:DWORD dst_unused:UNUSED_PAD src0_sel:DWORD src1_sel:WORD_1
	.loc	1 66 20                         ; fp8_utils_aot.py:66:20
	v_cndmask_b32_e64 v50, v245, v50, s[56:57]
	v_cmp_ne_u16_e64 s[56:57], 1, v52
	.loc	1 67 20                         ; fp8_utils_aot.py:67:20
	v_and_b32_e32 v133, 0x3f80, v133
	v_and_b32_sdwa v132, v178, s33 dst_sel:DWORD dst_unused:UNUSED_PAD src0_sel:WORD_1 src1_sel:DWORD
	.loc	1 66 20                         ; fp8_utils_aot.py:66:20
	v_cndmask_b32_e64 v47, v245, v47, s[56:57]
	v_cmp_ne_u16_e64 s[56:57], 2, v131
	.loc	1 67 20                         ; fp8_utils_aot.py:67:20
	v_add_u16_e32 v133, 0x2000, v133
	v_cmp_ne_u16_e64 s[62:63], s33, v132
	.loc	1 66 20                         ; fp8_utils_aot.py:66:20
	v_cndmask_b32_e64 v50, v246, v50, s[56:57]
	v_cmp_ne_u16_e64 s[56:57], 2, v52
	.loc	1 67 20                         ; fp8_utils_aot.py:67:20
	v_cmp_ne_u16_e64 s[66:67], 7, v132
	.loc	1 66 20                         ; fp8_utils_aot.py:66:20
	s_nop 0
	v_cndmask_b32_e64 v47, v246, v47, s[56:57]
	v_cmp_ne_u16_e64 s[56:57], 3, v131
	s_nop 1
	v_cndmask_b32_e64 v50, v247, v50, s[56:57]
	v_cmp_ne_u16_e64 s[56:57], 3, v52
	;; [unrolled: 3-line block ×7, first 2 shown]
	s_nop 1
	v_cndmask_b32_e64 v47, v68, v50, s[56:57]
	.loc	1 74 33                         ; fp8_utils_aot.py:74:33
	v_and_b32_e32 v50, 0xffff8000, v140
	v_or_b32_e32 v50, v48, v50
	.loc	1 66 20                         ; fp8_utils_aot.py:66:20
	v_cndmask_b32_e64 v48, v68, v55, s[60:61]
	.loc	1 74 33                         ; fp8_utils_aot.py:74:33
	v_and_b32_e32 v55, 0xffff8000, v136
	v_or_b32_e32 v55, v137, v55
	.loc	1 66 20                         ; fp8_utils_aot.py:66:20
	v_cmp_ne_u16_e64 s[56:57], 7, v131
	.loc	1 67 20                         ; fp8_utils_aot.py:67:20
	v_lshlrev_b16_e32 v131, 7, v178
	.loc	1 74 33                         ; fp8_utils_aot.py:74:33
	v_perm_b32 v177, v55, v50, s13
	.loc	1 67 20                         ; fp8_utils_aot.py:67:20
	v_and_b32_sdwa v55, v178, s33 dst_sel:DWORD dst_unused:UNUSED_PAD src0_sel:BYTE_3 src1_sel:DWORD
	v_and_b32_e32 v131, 0x3f80, v131
	v_and_b32_e32 v50, 0x7f, v178
	v_cmp_ne_u16_e64 s[60:61], s33, v55
	v_add_u16_e32 v131, 0x2000, v131
	s_nop 0
	v_cndmask_b32_e64 v130, v244, v134, s[60:61]
	v_cmp_ne_u16_e64 s[60:61], s33, v50
	s_nop 1
	v_cndmask_b32_e64 v131, v244, v131, s[60:61]
	v_cmp_ne_u16_e64 s[60:61], 0, v50
	;; [unrolled: 3-line block ×9, first 2 shown]
	v_cndmask_b32_e64 v50, v244, v133, s[62:63]
	v_cmp_ne_u16_e64 s[62:63], 0, v55
	s_nop 1
	v_cndmask_b32_e64 v130, 0, v130, s[62:63]
	v_cmp_ne_u16_e64 s[62:63], 0, v132
	s_nop 1
	;; [unrolled: 3-line block ×13, first 2 shown]
	v_cndmask_b32_e64 v130, v68, v130, s[62:63]
	v_cmp_ne_u16_e64 s[62:63], 6, v132
	.loc	1 66 20                         ; fp8_utils_aot.py:66:20
	v_and_b32_e32 v132, 0x7f, v148
	v_cmp_ne_u16_e64 s[70:71], s33, v132
	.loc	1 67 20                         ; fp8_utils_aot.py:67:20
	v_cndmask_b32_e64 v133, v68, v50, s[62:63]
	v_cndmask_b32_e64 v50, v69, v131, s[60:61]
	.loc	1 66 20                         ; fp8_utils_aot.py:66:20
	v_cmp_ne_u16_e64 s[60:61], 7, v52
	.loc	1 67 20                         ; fp8_utils_aot.py:67:20
	v_lshlrev_b16_e32 v52, 8, v178
	v_and_b32_e32 v52, 0xffff8000, v52
	v_or_b32_e32 v50, v50, v52
	v_lshrrev_b32_e32 v52, 8, v178
	v_cmp_ne_u16_e64 s[62:63], 7, v55
	v_lshlrev_b16_e32 v55, 7, v52
	v_and_b32_e32 v55, 0x3f80, v55
	v_and_b32_e32 v131, 0x7f, v52
	v_add_u16_e32 v55, 0x2000, v55
	v_cmp_ne_u16_e64 s[68:69], s33, v131
	v_lshlrev_b16_e32 v52, 8, v52
	v_and_b32_e32 v52, 0xffff8000, v52
	v_cndmask_b32_e64 v55, v244, v55, s[68:69]
	v_cmp_ne_u16_e64 s[68:69], 0, v131
	v_cndmask_b32_e64 v130, v69, v130, s[62:63]
	s_nop 0
	v_cndmask_b32_e64 v55, 0, v55, s[68:69]
	v_cmp_ne_u16_e64 s[68:69], 1, v131
	s_nop 1
	v_cndmask_b32_e64 v55, v245, v55, s[68:69]
	v_cmp_ne_u16_e64 s[68:69], 2, v131
	;; [unrolled: 3-line block ×7, first 2 shown]
	.loc	1 66 20                         ; fp8_utils_aot.py:66:20
	v_lshlrev_b16_e32 v131, 7, v148
	v_and_b32_e32 v131, 0x3f80, v131
	v_add_u16_e32 v131, 0x2000, v131
	v_cndmask_b32_e64 v131, v244, v131, s[70:71]
	v_cmp_ne_u16_e64 s[70:71], 0, v132
	.loc	1 67 20                         ; fp8_utils_aot.py:67:20
	v_cndmask_b32_e64 v55, v69, v55, s[68:69]
	v_or_b32_e32 v52, v55, v52
	.loc	1 66 20                         ; fp8_utils_aot.py:66:20
	v_cndmask_b32_e64 v131, 0, v131, s[70:71]
	v_cmp_ne_u16_e64 s[70:71], 1, v132
	.loc	1 67 20                         ; fp8_utils_aot.py:67:20
	v_lshlrev_b16_sdwa v55, v70, v178 dst_sel:DWORD dst_unused:UNUSED_PAD src0_sel:DWORD src1_sel:WORD_1
	v_and_b32_e32 v55, 0xffff8000, v55
	.loc	1 66 20                         ; fp8_utils_aot.py:66:20
	v_cndmask_b32_e64 v131, v245, v131, s[70:71]
	v_cmp_ne_u16_e64 s[70:71], 2, v132
	.loc	1 74 33                         ; fp8_utils_aot.py:74:33
	v_perm_b32 v168, v52, v50, s13
	.loc	1 67 20                         ; fp8_utils_aot.py:67:20
	s_waitcnt lgkmcnt(0)
	v_and_b32_sdwa v52, v186, s33 dst_sel:DWORD dst_unused:UNUSED_PAD src0_sel:BYTE_3 src1_sel:DWORD
	.loc	1 66 20                         ; fp8_utils_aot.py:66:20
	v_cndmask_b32_e64 v131, v246, v131, s[70:71]
	v_cmp_ne_u16_e64 s[70:71], 3, v132
	.loc	1 67 20                         ; fp8_utils_aot.py:67:20
	v_lshlrev_b16_sdwa v50, v70, v184 dst_sel:DWORD dst_unused:UNUSED_PAD src0_sel:DWORD src1_sel:BYTE_3
	v_and_b32_e32 v50, 0xffff8000, v50
	.loc	1 66 20                         ; fp8_utils_aot.py:66:20
	v_cndmask_b32_e64 v131, v247, v131, s[70:71]
	v_cmp_ne_u16_e64 s[70:71], 4, v132
	s_nop 1
	v_cndmask_b32_e64 v131, v252, v131, s[70:71]
	v_cmp_ne_u16_e64 s[70:71], 5, v132
	s_nop 1
	;; [unrolled: 3-line block ×3, first 2 shown]
	v_cndmask_b32_e64 v131, v68, v131, s[70:71]
	v_cmp_ne_u16_e64 s[70:71], 7, v132
	v_cndmask_b32_e64 v132, v69, v56, s[74:75]
	.loc	1 67 20                         ; fp8_utils_aot.py:67:20
	v_cndmask_b32_e64 v56, v69, v133, s[66:67]
	v_or_b32_e32 v55, v56, v55
	v_lshlrev_b16_sdwa v56, v70, v178 dst_sel:DWORD dst_unused:UNUSED_PAD src0_sel:DWORD src1_sel:BYTE_3
	.loc	1 66 20                         ; fp8_utils_aot.py:66:20
	v_lshlrev_b16_e32 v133, 8, v148
	.loc	1 67 20                         ; fp8_utils_aot.py:67:20
	v_and_b32_e32 v56, 0xffff8000, v56
	.loc	1 66 20                         ; fp8_utils_aot.py:66:20
	v_cndmask_b32_e64 v131, v69, v131, s[70:71]
	.loc	1 67 20                         ; fp8_utils_aot.py:67:20
	v_or_b32_e32 v56, v130, v56
	.loc	1 74 33                         ; fp8_utils_aot.py:74:33
	v_and_b32_e32 v130, 0xffff8000, v133
	v_or_b32_e32 v130, v131, v130
	v_or_b32_e32 v53, v132, v53
	v_perm_b32 v174, v130, v46, s13
	.loc	1 67 20                         ; fp8_utils_aot.py:67:20
	v_lshlrev_b16_sdwa v46, v71, v180 dst_sel:DWORD dst_unused:UNUSED_PAD src0_sel:DWORD src1_sel:BYTE_3
	.loc	1 74 33                         ; fp8_utils_aot.py:74:33
	v_perm_b32 v175, v51, v53, s13
	.loc	1 67 20                         ; fp8_utils_aot.py:67:20
	v_and_b32_e32 v46, 0x3f80, v46
	v_add_u16_e32 v53, 0x2000, v105
	v_and_b32_sdwa v105, v180, s33 dst_sel:DWORD dst_unused:UNUSED_PAD src0_sel:BYTE_3 src1_sel:DWORD
	v_add_u16_e32 v46, 0x2000, v46
	v_cmp_ne_u16_e64 s[58:59], s33, v105
	v_lshlrev_b16_sdwa v131, v71, v180 dst_sel:DWORD dst_unused:UNUSED_PAD src0_sel:DWORD src1_sel:WORD_1
	v_and_b32_e32 v131, 0x3f80, v131
	v_cndmask_b32_e64 v46, v244, v46, s[58:59]
	v_cmp_ne_u16_e64 s[58:59], 0, v105
	v_add_u16_e32 v51, 0x2000, v131
	.loc	1 66 20                         ; fp8_utils_aot.py:66:20
	v_cndmask_b32_e64 v132, v69, v49, s[64:65]
	.loc	1 67 20                         ; fp8_utils_aot.py:67:20
	v_cndmask_b32_e64 v46, 0, v46, s[58:59]
	v_cmp_ne_u16_e64 s[58:59], 1, v105
	v_lshlrev_b16_e32 v49, 8, v54
	v_and_b32_e32 v49, 0xffff8000, v49
	v_cndmask_b32_e64 v46, v245, v46, s[58:59]
	v_cmp_ne_u16_e64 s[58:59], 2, v105
	.loc	1 66 20                         ; fp8_utils_aot.py:66:20
	v_cndmask_b32_e64 v131, v69, v142, s[52:53]
	.loc	1 74 33                         ; fp8_utils_aot.py:74:33
	v_perm_b32 v169, v56, v55, s13
	.loc	1 67 20                         ; fp8_utils_aot.py:67:20
	v_cndmask_b32_e64 v46, v246, v46, s[58:59]
	v_cmp_ne_u16_e64 s[58:59], 3, v105
	v_lshlrev_b16_sdwa v55, v71, v141 dst_sel:DWORD dst_unused:UNUSED_PAD src0_sel:DWORD src1_sel:WORD_1
	v_and_b32_e32 v55, 0x3f80, v55
	v_cndmask_b32_e64 v46, v247, v46, s[58:59]
	v_cmp_ne_u16_e64 s[58:59], 4, v105
	v_add_u16_e32 v55, 0x2000, v55
	v_lshlrev_b16_sdwa v56, v70, v141 dst_sel:DWORD dst_unused:UNUSED_PAD src0_sel:DWORD src1_sel:BYTE_3
	v_cndmask_b32_e64 v46, v252, v46, s[58:59]
	v_cmp_ne_u16_e64 s[58:59], 5, v105
	.loc	1 74 33                         ; fp8_utils_aot.py:74:33
	v_mfma_f32_32x32x8_f16 v[0:15], v[168:169], v[146:147], v[0:15]
	.loc	1 66 20                         ; fp8_utils_aot.py:66:20
	v_lshlrev_b16_sdwa v178, v70, v127 dst_sel:DWORD dst_unused:UNUSED_PAD src0_sel:DWORD src1_sel:BYTE_3
	.loc	1 67 20                         ; fp8_utils_aot.py:67:20
	v_cndmask_b32_e64 v46, v253, v46, s[58:59]
	v_cmp_ne_u16_e64 s[58:59], 6, v105
	v_and_b32_e32 v146, 0x7f, v181
	v_lshlrev_b16_sdwa v147, v71, v183 dst_sel:DWORD dst_unused:UNUSED_PAD src0_sel:DWORD src1_sel:BYTE_3
	v_cndmask_b32_e64 v130, v68, v46, s[58:59]
	v_and_b32_sdwa v46, v180, s33 dst_sel:DWORD dst_unused:UNUSED_PAD src0_sel:WORD_1 src1_sel:DWORD
	v_cmp_ne_u16_e64 s[62:63], s33, v46
	v_cmp_ne_u16_e64 s[58:59], 7, v105
	v_and_b32_e32 v105, 0x7f, v180
	v_cndmask_b32_e64 v51, v244, v51, s[62:63]
	v_cmp_ne_u16_e64 s[62:63], 0, v46
	v_cmp_ne_u16_e64 s[68:69], s33, v105
	v_and_b32_sdwa v148, v183, s33 dst_sel:DWORD dst_unused:UNUSED_PAD src0_sel:BYTE_3 src1_sel:DWORD
	v_cndmask_b32_e64 v51, 0, v51, s[62:63]
	v_cmp_ne_u16_e64 s[62:63], 1, v46
	v_and_b32_e32 v147, 0x3f80, v147
	v_add_u16_e32 v147, 0x2000, v147
	v_cndmask_b32_e64 v51, v245, v51, s[62:63]
	v_cmp_ne_u16_e64 s[62:63], 2, v46
	s_nop 1
	v_cndmask_b32_e64 v51, v246, v51, s[62:63]
	v_cmp_ne_u16_e64 s[62:63], 3, v46
	s_nop 1
	v_cndmask_b32_e64 v51, v247, v51, s[62:63]
	v_cmp_ne_u16_e64 s[62:63], 4, v46
	s_nop 1
	v_cndmask_b32_e64 v51, v252, v51, s[62:63]
	v_cmp_ne_u16_e64 s[62:63], 5, v46
	s_nop 1
	v_cndmask_b32_e64 v51, v253, v51, s[62:63]
	v_cmp_ne_u16_e64 s[62:63], 6, v46
	s_nop 1
	v_cndmask_b32_e64 v51, v68, v51, s[62:63]
	v_cmp_ne_u16_e64 s[62:63], 7, v46
	v_and_b32_e32 v46, 0x7f, v54
	v_cmp_ne_u16_e64 s[66:67], s33, v46
	v_cndmask_b32_e64 v51, v69, v51, s[62:63]
	v_cndmask_b32_e64 v54, v69, v130, s[58:59]
	;; [unrolled: 1-line block ×3, first 2 shown]
	v_cmp_ne_u16_e64 s[66:67], 0, v46
	.loc	1 66 20                         ; fp8_utils_aot.py:66:20
	v_cndmask_b32_e64 v130, v69, v151, s[54:55]
	.loc	1 74 33                         ; fp8_utils_aot.py:74:33
	v_or_b32_e32 v58, v130, v58
	.loc	1 67 20                         ; fp8_utils_aot.py:67:20
	v_cndmask_b32_e64 v53, 0, v53, s[66:67]
	v_cmp_ne_u16_e64 s[66:67], 1, v46
	v_lshrrev_b32_e32 v130, 8, v182
	s_nop 0
	v_cndmask_b32_e64 v53, v245, v53, s[66:67]
	v_cmp_ne_u16_e64 s[66:67], 2, v46
	s_nop 1
	v_cndmask_b32_e64 v53, v246, v53, s[66:67]
	v_cmp_ne_u16_e64 s[66:67], 3, v46
	;; [unrolled: 3-line block ×6, first 2 shown]
	v_lshlrev_b16_e32 v46, 7, v180
	v_and_b32_e32 v46, 0x3f80, v46
	v_cndmask_b32_e64 v53, v69, v53, s[66:67]
	v_or_b32_e32 v49, v53, v49
	v_lshlrev_b16_sdwa v53, v70, v180 dst_sel:DWORD dst_unused:UNUSED_PAD src0_sel:DWORD src1_sel:WORD_1
	v_and_b32_e32 v53, 0xffff8000, v53
	v_or_b32_e32 v51, v51, v53
	v_lshlrev_b16_sdwa v53, v70, v180 dst_sel:DWORD dst_unused:UNUSED_PAD src0_sel:DWORD src1_sel:BYTE_3
	v_add_u16_e32 v46, 0x2000, v46
	v_and_b32_e32 v53, 0xffff8000, v53
	v_cndmask_b32_e64 v46, v244, v46, s[68:69]
	v_cmp_ne_u16_e64 s[68:69], 0, v105
	v_or_b32_e32 v53, v54, v53
	.loc	1 74 33                         ; fp8_utils_aot.py:74:33
	v_and_b32_e32 v54, 0xffff8000, v65
	.loc	1 66 20                         ; fp8_utils_aot.py:66:20
	v_cndmask_b32_e64 v65, v69, v139, s[50:51]
	.loc	1 67 20                         ; fp8_utils_aot.py:67:20
	v_cndmask_b32_e64 v46, 0, v46, s[68:69]
	v_cmp_ne_u16_e64 s[68:69], 1, v105
	.loc	1 74 33                         ; fp8_utils_aot.py:74:33
	v_or_b32_e32 v54, v132, v54
	v_or_b32_e32 v57, v65, v57
	.loc	1 67 20                         ; fp8_utils_aot.py:67:20
	v_lshlrev_b16_e32 v65, 7, v130
	v_cndmask_b32_e64 v46, v245, v46, s[68:69]
	v_cmp_ne_u16_e64 s[68:69], 2, v105
	v_and_b32_e32 v65, 0x3f80, v65
	.loc	1 74 33                         ; fp8_utils_aot.py:74:33
	v_perm_b32 v159, v58, v54, s13
	.loc	1 67 20                         ; fp8_utils_aot.py:67:20
	v_lshlrev_b16_sdwa v54, v71, v182 dst_sel:DWORD dst_unused:UNUSED_PAD src0_sel:DWORD src1_sel:BYTE_3
	v_cndmask_b32_e64 v46, v246, v46, s[68:69]
	v_cmp_ne_u16_e64 s[68:69], 3, v105
	v_and_b32_e32 v54, 0x3f80, v54
	v_add_u16_e32 v58, 0x2000, v65
	v_and_b32_sdwa v65, v182, s33 dst_sel:DWORD dst_unused:UNUSED_PAD src0_sel:BYTE_3 src1_sel:DWORD
	v_cndmask_b32_e64 v46, v247, v46, s[68:69]
	v_cmp_ne_u16_e64 s[68:69], 4, v105
	v_add_u16_e32 v54, 0x2000, v54
	v_cmp_ne_u16_e64 s[50:51], s33, v65
	v_cndmask_b32_e64 v46, v252, v46, s[68:69]
	v_cmp_ne_u16_e64 s[68:69], 5, v105
	v_cndmask_b32_e64 v54, v244, v54, s[50:51]
	;; [unrolled: 2-line block ×5, first 2 shown]
	v_cmp_ne_u16_e64 s[68:69], 7, v105
	v_lshlrev_b16_e32 v105, 8, v180
	v_cndmask_b32_e64 v54, v245, v54, s[50:51]
	v_cmp_ne_u16_e64 s[50:51], 2, v65
	v_and_b32_e32 v105, 0xffff8000, v105
	v_cndmask_b32_e64 v46, v69, v46, s[68:69]
	v_cndmask_b32_e64 v54, v246, v54, s[50:51]
	v_cmp_ne_u16_e64 s[50:51], 3, v65
	v_or_b32_e32 v46, v46, v105
	.loc	1 66 20                         ; fp8_utils_aot.py:66:20
	v_lshlrev_b16_e32 v105, 8, v138
	.loc	1 67 20                         ; fp8_utils_aot.py:67:20
	v_cndmask_b32_e64 v54, v247, v54, s[50:51]
	v_cmp_ne_u16_e64 s[50:51], 4, v65
	.loc	1 74 33                         ; fp8_utils_aot.py:74:33
	v_and_b32_e32 v105, 0xffff8000, v105
	v_or_b32_e32 v105, v131, v105
	.loc	1 67 20                         ; fp8_utils_aot.py:67:20
	v_cndmask_b32_e64 v54, v252, v54, s[50:51]
	v_cmp_ne_u16_e64 s[50:51], 5, v65
	v_lshlrev_b16_sdwa v131, v71, v182 dst_sel:DWORD dst_unused:UNUSED_PAD src0_sel:DWORD src1_sel:WORD_1
	v_and_b32_e32 v131, 0x3f80, v131
	v_cndmask_b32_e64 v54, v253, v54, s[50:51]
	v_cmp_ne_u16_e64 s[50:51], 6, v65
	.loc	1 74 33                         ; fp8_utils_aot.py:74:33
	v_perm_b32 v158, v105, v57, s13
	.loc	1 67 20                         ; fp8_utils_aot.py:67:20
	v_add_u16_e32 v57, 0x2000, v131
	v_cndmask_b32_e64 v105, v68, v54, s[50:51]
	v_and_b32_sdwa v54, v182, s33 dst_sel:DWORD dst_unused:UNUSED_PAD src0_sel:WORD_1 src1_sel:DWORD
	v_cmp_ne_u16_e64 s[52:53], s33, v54
	v_cmp_ne_u16_e64 s[50:51], 7, v65
	.loc	1 74 33                         ; fp8_utils_aot.py:74:33
	v_perm_b32 v135, v53, v51, s13
	.loc	1 67 20                         ; fp8_utils_aot.py:67:20
	v_cndmask_b32_e64 v57, v244, v57, s[52:53]
	v_cmp_ne_u16_e64 s[52:53], 0, v54
	v_cndmask_b32_e64 v105, v69, v105, s[50:51]
	v_lshlrev_b16_sdwa v51, v71, v186 dst_sel:DWORD dst_unused:UNUSED_PAD src0_sel:DWORD src1_sel:BYTE_3
	v_cndmask_b32_e64 v57, 0, v57, s[52:53]
	v_cmp_ne_u16_e64 s[52:53], 1, v54
	v_and_b32_e32 v51, 0x3f80, v51
	v_add_u16_e32 v51, 0x2000, v51
	v_cndmask_b32_e64 v57, v245, v57, s[52:53]
	v_cmp_ne_u16_e64 s[52:53], 2, v54
	.loc	1 74 33                         ; fp8_utils_aot.py:74:33
	v_perm_b32 v134, v49, v46, s13
	.loc	1 67 20                         ; fp8_utils_aot.py:67:20
	v_lshlrev_b16_sdwa v49, v71, v186 dst_sel:DWORD dst_unused:UNUSED_PAD src0_sel:DWORD src1_sel:WORD_1
	v_cndmask_b32_e64 v57, v246, v57, s[52:53]
	v_cmp_ne_u16_e64 s[52:53], 3, v54
	v_and_b32_e32 v49, 0x3f80, v49
	v_add_u16_e32 v49, 0x2000, v49
	v_cndmask_b32_e64 v57, v247, v57, s[52:53]
	v_cmp_ne_u16_e64 s[52:53], 4, v54
	v_and_b32_e32 v53, 0x7f, v186
	.loc	1 74 33                         ; fp8_utils_aot.py:74:33
	v_mfma_f32_32x32x8_f16 v[0:15], v[134:135], v[144:145], v[0:15]
	.loc	1 67 20                         ; fp8_utils_aot.py:67:20
	v_cndmask_b32_e64 v57, v252, v57, s[52:53]
	v_cmp_ne_u16_e64 s[52:53], 5, v54
	v_and_b32_sdwa v144, v181, s33 dst_sel:DWORD dst_unused:UNUSED_PAD src0_sel:BYTE_3 src1_sel:DWORD
	v_and_b32_sdwa v145, v181, s33 dst_sel:DWORD dst_unused:UNUSED_PAD src0_sel:WORD_1 src1_sel:DWORD
	v_cndmask_b32_e64 v57, v253, v57, s[52:53]
	v_cmp_ne_u16_e64 s[52:53], 6, v54
	.loc	1 74 33                         ; fp8_utils_aot.py:74:33
	v_mfma_f32_32x32x8_f16 v[16:31], v[168:169], v[158:159], v[16:31]
	.loc	1 67 20                         ; fp8_utils_aot.py:67:20
	s_nop 0
	v_cndmask_b32_e64 v65, v68, v57, s[52:53]
	v_cmp_ne_u16_e64 s[52:53], 7, v54
	v_and_b32_e32 v54, 0x7f, v130
	v_cmp_ne_u16_e64 s[54:55], s33, v54
	v_cndmask_b32_e64 v65, v69, v65, s[52:53]
	s_nop 0
	v_cndmask_b32_e64 v57, v244, v58, s[54:55]
	v_cmp_ne_u16_e64 s[54:55], 0, v54
	v_and_b32_e32 v58, 0x7f, v182
	v_cmp_ne_u16_e64 s[58:59], s33, v58
	v_cndmask_b32_e64 v57, 0, v57, s[54:55]
	v_cmp_ne_u16_e64 s[54:55], 1, v54
	s_nop 1
	v_cndmask_b32_e64 v57, v245, v57, s[54:55]
	v_cmp_ne_u16_e64 s[54:55], 2, v54
	s_nop 1
	;; [unrolled: 3-line block ×6, first 2 shown]
	v_cndmask_b32_e64 v57, v68, v57, s[54:55]
	v_cmp_ne_u16_e64 s[54:55], 7, v54
	v_lshlrev_b16_e32 v54, 7, v182
	v_and_b32_e32 v54, 0x3f80, v54
	v_add_u16_e32 v54, 0x2000, v54
	v_cndmask_b32_e64 v54, v244, v54, s[58:59]
	v_cmp_ne_u16_e64 s[58:59], 0, v58
	v_cndmask_b32_e64 v57, v69, v57, s[54:55]
	s_nop 0
	v_cndmask_b32_e64 v54, 0, v54, s[58:59]
	v_cmp_ne_u16_e64 s[58:59], 1, v58
	s_nop 1
	v_cndmask_b32_e64 v54, v245, v54, s[58:59]
	v_cmp_ne_u16_e64 s[58:59], 2, v58
	;; [unrolled: 3-line block ×7, first 2 shown]
	v_lshlrev_b16_e32 v58, 8, v182
	v_and_b32_e32 v58, 0xffff8000, v58
	v_cndmask_b32_e64 v54, v69, v54, s[58:59]
	v_or_b32_e32 v54, v54, v58
	v_lshlrev_b16_e32 v58, 8, v130
	v_and_b32_e32 v58, 0xffff8000, v58
	v_or_b32_e32 v57, v57, v58
	v_lshlrev_b16_sdwa v58, v70, v182 dst_sel:DWORD dst_unused:UNUSED_PAD src0_sel:DWORD src1_sel:WORD_1
	v_and_b32_e32 v58, 0xffff8000, v58
	v_or_b32_e32 v58, v65, v58
	v_lshlrev_b16_sdwa v65, v70, v182 dst_sel:DWORD dst_unused:UNUSED_PAD src0_sel:DWORD src1_sel:BYTE_3
	v_and_b32_e32 v65, 0xffff8000, v65
	v_or_b32_e32 v65, v105, v65
	.loc	1 66 20                         ; fp8_utils_aot.py:66:20
	v_lshlrev_b16_sdwa v105, v70, v128 dst_sel:DWORD dst_unused:UNUSED_PAD src0_sel:DWORD src1_sel:WORD_1
	.loc	1 74 33                         ; fp8_utils_aot.py:74:33
	v_and_b32_e32 v105, 0xffff8000, v105
	v_or_b32_e32 v95, v95, v105
	.loc	1 66 20                         ; fp8_utils_aot.py:66:20
	v_lshlrev_b16_sdwa v105, v70, v128 dst_sel:DWORD dst_unused:UNUSED_PAD src0_sel:DWORD src1_sel:BYTE_3
	.loc	1 74 33                         ; fp8_utils_aot.py:74:33
	v_and_b32_e32 v105, 0xffff8000, v105
	v_or_b32_e32 v59, v59, v105
	.loc	1 66 20                         ; fp8_utils_aot.py:66:20
	v_lshlrev_b16_e32 v105, 8, v128
	.loc	1 74 33                         ; fp8_utils_aot.py:74:33
	v_and_b32_e32 v105, 0xffff8000, v105
	v_or_b32_e32 v103, v103, v105
	v_perm_b32 v131, v59, v95, s13
	.loc	1 66 20                         ; fp8_utils_aot.py:66:20
	v_lshlrev_b16_sdwa v59, v70, v126 dst_sel:DWORD dst_unused:UNUSED_PAD src0_sel:DWORD src1_sel:BYTE_3
	.loc	1 74 33                         ; fp8_utils_aot.py:74:33
	v_perm_b32 v130, v43, v103, s13
	v_and_b32_e32 v43, 0xffff8000, v88
	v_and_b32_e32 v59, 0xffff8000, v59
	v_or_b32_e32 v43, v64, v43
	v_or_b32_e32 v59, v61, v59
	v_perm_b32 v133, v59, v43, s13
	.loc	1 67 20                         ; fp8_utils_aot.py:67:20
	v_lshlrev_b16_sdwa v43, v71, v184 dst_sel:DWORD dst_unused:UNUSED_PAD src0_sel:DWORD src1_sel:BYTE_3
	v_and_b32_e32 v43, 0x3f80, v43
	v_add_u16_e32 v59, 0x2000, v62
	v_and_b32_sdwa v62, v184, s33 dst_sel:DWORD dst_unused:UNUSED_PAD src0_sel:BYTE_3 src1_sel:DWORD
	v_add_u16_e32 v43, 0x2000, v43
	v_cmp_ne_u16_e64 s[46:47], s33, v62
	.loc	1 66 20                         ; fp8_utils_aot.py:66:20
	v_lshlrev_b16_e32 v105, 8, v126
	.loc	1 67 20                         ; fp8_utils_aot.py:67:20
	v_lshrrev_b32_e32 v61, 8, v184
	v_cndmask_b32_e64 v43, v244, v43, s[46:47]
	v_cmp_ne_u16_e64 s[46:47], 0, v62
	.loc	1 74 33                         ; fp8_utils_aot.py:74:33
	v_and_b32_e32 v64, 0xffff8000, v105
	v_or_b32_e32 v63, v63, v64
	.loc	1 67 20                         ; fp8_utils_aot.py:67:20
	v_cndmask_b32_e64 v43, 0, v43, s[46:47]
	v_cmp_ne_u16_e64 s[46:47], 1, v62
	v_lshlrev_b16_e32 v64, 7, v61
	v_and_b32_e32 v64, 0x3f80, v64
	v_cndmask_b32_e64 v43, v245, v43, s[46:47]
	v_cmp_ne_u16_e64 s[46:47], 2, v62
	.loc	1 74 33                         ; fp8_utils_aot.py:74:33
	v_perm_b32 v132, v60, v63, s13
	.loc	1 67 20                         ; fp8_utils_aot.py:67:20
	v_add_u16_e32 v60, 0x2000, v64
	v_cndmask_b32_e64 v43, v246, v43, s[46:47]
	v_cmp_ne_u16_e64 s[46:47], 3, v62
	v_and_b32_e32 v63, 0x7f, v184
	v_cmp_ne_u16_e64 s[52:53], s33, v63
	v_cndmask_b32_e64 v43, v247, v43, s[46:47]
	v_cmp_ne_u16_e64 s[46:47], 4, v62
	.loc	1 74 33                         ; fp8_utils_aot.py:74:33
	v_perm_b32 v136, v57, v54, s13
	.loc	1 67 20                         ; fp8_utils_aot.py:67:20
	v_lshlrev_b16_sdwa v57, v71, v141 dst_sel:DWORD dst_unused:UNUSED_PAD src0_sel:DWORD src1_sel:BYTE_3
	v_cndmask_b32_e64 v43, v252, v43, s[46:47]
	v_cmp_ne_u16_e64 s[46:47], 5, v62
	.loc	1 74 33                         ; fp8_utils_aot.py:74:33
	v_perm_b32 v137, v65, v58, s13
	.loc	1 67 20                         ; fp8_utils_aot.py:67:20
	v_and_b32_sdwa v58, v141, s33 dst_sel:DWORD dst_unused:UNUSED_PAD src0_sel:BYTE_3 src1_sel:DWORD
	v_cndmask_b32_e64 v43, v253, v43, s[46:47]
	v_cmp_ne_u16_e64 s[46:47], 6, v62
	v_and_b32_e32 v57, 0x3f80, v57
	v_add_u16_e32 v57, 0x2000, v57
	v_cndmask_b32_e64 v43, v68, v43, s[46:47]
	v_cmp_ne_u16_e64 s[46:47], 7, v62
	v_and_b32_sdwa v62, v184, s33 dst_sel:DWORD dst_unused:UNUSED_PAD src0_sel:WORD_1 src1_sel:DWORD
	v_cmp_ne_u16_e64 s[48:49], s33, v62
	v_cndmask_b32_e64 v43, v69, v43, s[46:47]
	v_cmp_ne_u16_e64 s[46:47], s33, v52
	v_cndmask_b32_e64 v59, v244, v59, s[48:49]
	;; [unrolled: 2-line block ×16, first 2 shown]
	v_cmp_ne_u16_e64 s[48:49], 7, v62
	v_and_b32_e32 v62, 0x7f, v61
	v_cndmask_b32_e64 v51, v68, v51, s[46:47]
	v_cmp_ne_u16_e64 s[46:47], 7, v52
	v_and_b32_sdwa v52, v186, s33 dst_sel:DWORD dst_unused:UNUSED_PAD src0_sel:WORD_1 src1_sel:DWORD
	v_cmp_ne_u16_e64 s[50:51], s33, v62
	v_cndmask_b32_e64 v59, v69, v59, s[48:49]
	v_cmp_ne_u16_e64 s[48:49], s33, v52
	v_cndmask_b32_e64 v60, v244, v60, s[50:51]
	;; [unrolled: 2-line block ×12, first 2 shown]
	v_cmp_ne_u16_e64 s[50:51], 5, v62
	v_or_b32_e32 v43, v43, v50
	v_lshrrev_b32_e32 v50, 8, v186
	v_cndmask_b32_e64 v49, v252, v49, s[48:49]
	v_cmp_ne_u16_e64 s[48:49], 5, v52
	v_cndmask_b32_e64 v60, v253, v60, s[50:51]
	v_cmp_ne_u16_e64 s[50:51], 6, v62
	v_lshlrev_b16_e32 v46, 7, v50
	v_cndmask_b32_e64 v49, v253, v49, s[48:49]
	v_cmp_ne_u16_e64 s[48:49], 6, v52
	v_cndmask_b32_e64 v60, v68, v60, s[50:51]
	v_cmp_ne_u16_e64 s[50:51], 7, v62
	v_lshlrev_b16_e32 v62, 7, v184
	v_and_b32_e32 v46, 0x3f80, v46
	v_cndmask_b32_e64 v49, v68, v49, s[48:49]
	v_cmp_ne_u16_e64 s[48:49], 7, v52
	v_and_b32_e32 v52, 0x7f, v50
	v_and_b32_e32 v62, 0x3f80, v62
	v_cndmask_b32_e64 v60, v69, v60, s[50:51]
	v_add_u16_e32 v46, 0x2000, v46
	v_cmp_ne_u16_e64 s[50:51], s33, v52
	v_add_u16_e32 v62, 0x2000, v62
	v_cndmask_b32_e64 v62, v244, v62, s[52:53]
	v_cndmask_b32_e64 v46, v244, v46, s[50:51]
	v_cmp_ne_u16_e64 s[50:51], 0, v52
	v_cmp_ne_u16_e64 s[52:53], 0, v63
	v_lshlrev_b16_e32 v61, 8, v61
	v_cndmask_b32_e64 v46, 0, v46, s[50:51]
	v_cmp_ne_u16_e64 s[50:51], 1, v52
	v_cndmask_b32_e64 v62, 0, v62, s[52:53]
	v_cmp_ne_u16_e64 s[52:53], 1, v63
	;; [unrolled: 2-line block ×13, first 2 shown]
	v_lshlrev_b16_e32 v52, 7, v186
	v_cndmask_b32_e64 v62, v68, v62, s[52:53]
	v_cmp_ne_u16_e64 s[52:53], 7, v63
	v_and_b32_e32 v61, 0xffff8000, v61
	v_and_b32_e32 v52, 0x3f80, v52
	v_cndmask_b32_e64 v62, v69, v62, s[52:53]
	v_or_b32_e32 v60, v60, v61
	v_lshlrev_b16_sdwa v61, v70, v184 dst_sel:DWORD dst_unused:UNUSED_PAD src0_sel:DWORD src1_sel:WORD_1
	v_add_u16_e32 v52, 0x2000, v52
	v_cmp_ne_u16_e64 s[52:53], s33, v53
	v_and_b32_e32 v61, 0xffff8000, v61
	v_or_b32_e32 v59, v59, v61
	v_cndmask_b32_e64 v52, v244, v52, s[52:53]
	v_cmp_ne_u16_e64 s[52:53], 0, v53
	v_cndmask_b32_e64 v51, v69, v51, s[46:47]
	.loc	1 74 33                         ; fp8_utils_aot.py:74:33
	v_perm_b32 v139, v43, v59, s13
	.loc	1 67 20                         ; fp8_utils_aot.py:67:20
	v_cndmask_b32_e64 v52, 0, v52, s[52:53]
	v_cmp_ne_u16_e64 s[52:53], 1, v53
	v_and_b32_sdwa v59, v141, s33 dst_sel:DWORD dst_unused:UNUSED_PAD src0_sel:WORD_1 src1_sel:DWORD
	v_cmp_ne_u16_e64 s[46:47], s33, v58
	v_cndmask_b32_e64 v52, v245, v52, s[52:53]
	v_cmp_ne_u16_e64 s[52:53], 2, v53
	v_lshlrev_b16_e32 v50, 8, v50
	v_cndmask_b32_e64 v49, v69, v49, s[48:49]
	v_cndmask_b32_e64 v52, v246, v52, s[52:53]
	v_cmp_ne_u16_e64 s[52:53], 3, v53
	v_cndmask_b32_e64 v57, v244, v57, s[46:47]
	v_cmp_ne_u16_e64 s[46:47], 0, v58
	v_cmp_ne_u16_e64 s[48:49], s33, v59
	v_cndmask_b32_e64 v52, v247, v52, s[52:53]
	v_cmp_ne_u16_e64 s[52:53], 4, v53
	v_and_b32_e32 v50, 0xffff8000, v50
	v_cndmask_b32_e64 v46, v69, v46, s[50:51]
	v_cndmask_b32_e64 v57, 0, v57, s[46:47]
	v_cmp_ne_u16_e64 s[46:47], 1, v58
	v_cndmask_b32_e64 v55, v244, v55, s[48:49]
	v_cmp_ne_u16_e64 s[48:49], 0, v59
	;; [unrolled: 2-line block ×3, first 2 shown]
	v_or_b32_e32 v46, v46, v50
	v_lshlrev_b16_sdwa v50, v70, v186 dst_sel:DWORD dst_unused:UNUSED_PAD src0_sel:DWORD src1_sel:WORD_1
	v_cndmask_b32_e64 v57, v245, v57, s[46:47]
	v_cmp_ne_u16_e64 s[46:47], 2, v58
	v_cndmask_b32_e64 v55, 0, v55, s[48:49]
	v_cmp_ne_u16_e64 s[48:49], 1, v59
	;; [unrolled: 2-line block ×3, first 2 shown]
	v_and_b32_e32 v50, 0xffff8000, v50
	v_cndmask_b32_e64 v57, v246, v57, s[46:47]
	v_cmp_ne_u16_e64 s[46:47], 3, v58
	v_cndmask_b32_e64 v55, v245, v55, s[48:49]
	v_cmp_ne_u16_e64 s[48:49], 2, v59
	v_lshlrev_b16_e32 v63, 8, v184
	v_cndmask_b32_e64 v52, v68, v52, s[52:53]
	v_cmp_ne_u16_e64 s[52:53], 7, v53
	v_lshlrev_b16_e32 v53, 8, v186
	v_or_b32_e32 v49, v49, v50
	v_lshlrev_b16_sdwa v50, v70, v186 dst_sel:DWORD dst_unused:UNUSED_PAD src0_sel:DWORD src1_sel:BYTE_3
	v_cndmask_b32_e64 v57, v247, v57, s[46:47]
	v_cmp_ne_u16_e64 s[46:47], 4, v58
	v_cndmask_b32_e64 v55, v246, v55, s[48:49]
	v_cmp_ne_u16_e64 s[48:49], 3, v59
	v_and_b32_e32 v63, 0xffff8000, v63
	v_and_b32_e32 v53, 0xffff8000, v53
	v_cndmask_b32_e64 v52, v69, v52, s[52:53]
	v_and_b32_e32 v50, 0xffff8000, v50
	v_cndmask_b32_e64 v57, v252, v57, s[46:47]
	v_cmp_ne_u16_e64 s[46:47], 5, v58
	v_cndmask_b32_e64 v55, v247, v55, s[48:49]
	v_cmp_ne_u16_e64 s[48:49], 4, v59
	v_or_b32_e32 v62, v62, v63
	v_or_b32_e32 v52, v52, v53
	;; [unrolled: 1-line block ×3, first 2 shown]
	v_lshrrev_b32_e32 v51, 8, v141
	v_lshlrev_b16_e32 v53, 7, v141
	v_cndmask_b32_e64 v57, v253, v57, s[46:47]
	v_cmp_ne_u16_e64 s[46:47], 6, v58
	v_cndmask_b32_e64 v55, v252, v55, s[48:49]
	v_cmp_ne_u16_e64 s[48:49], 5, v59
	.loc	1 74 33                         ; fp8_utils_aot.py:74:33
	v_perm_b32 v138, v60, v62, s13
	.loc	1 67 20                         ; fp8_utils_aot.py:67:20
	v_and_b32_e32 v60, 0x7f, v141
	v_cndmask_b32_e64 v57, v68, v57, s[46:47]
	v_cmp_ne_u16_e64 s[46:47], 7, v58
	v_cndmask_b32_e64 v55, v253, v55, s[48:49]
	v_cmp_ne_u16_e64 s[48:49], 6, v59
	v_lshlrev_b16_e32 v58, 7, v51
	v_and_b32_e32 v53, 0x3f80, v53
	v_cndmask_b32_e64 v55, v68, v55, s[48:49]
	v_cmp_ne_u16_e64 s[48:49], 7, v59
	v_and_b32_e32 v58, 0x3f80, v58
	v_and_b32_e32 v59, 0x7f, v51
	v_add_u16_e32 v53, 0x2000, v53
	v_cmp_ne_u16_e64 s[52:53], s33, v60
	v_add_u16_e32 v58, 0x2000, v58
	v_cmp_ne_u16_e64 s[50:51], s33, v59
	v_cndmask_b32_e64 v53, v244, v53, s[52:53]
	v_cmp_ne_u16_e64 s[52:53], 0, v60
	v_cndmask_b32_e64 v58, v244, v58, s[50:51]
	v_cmp_ne_u16_e64 s[50:51], 0, v59
	v_cndmask_b32_e64 v53, 0, v53, s[52:53]
	v_cmp_ne_u16_e64 s[52:53], 1, v60
	v_cndmask_b32_e64 v58, 0, v58, s[50:51]
	v_cmp_ne_u16_e64 s[50:51], 1, v59
	v_cndmask_b32_e64 v53, v245, v53, s[52:53]
	v_cmp_ne_u16_e64 s[52:53], 2, v60
	v_cndmask_b32_e64 v58, v245, v58, s[50:51]
	v_cmp_ne_u16_e64 s[50:51], 2, v59
	v_cndmask_b32_e64 v53, v246, v53, s[52:53]
	v_cmp_ne_u16_e64 s[52:53], 3, v60
	v_cndmask_b32_e64 v58, v246, v58, s[50:51]
	v_cmp_ne_u16_e64 s[50:51], 3, v59
	v_cndmask_b32_e64 v53, v247, v53, s[52:53]
	v_cmp_ne_u16_e64 s[52:53], 4, v60
	v_cndmask_b32_e64 v58, v247, v58, s[50:51]
	v_cmp_ne_u16_e64 s[50:51], 4, v59
	v_cndmask_b32_e64 v53, v252, v53, s[52:53]
	v_cmp_ne_u16_e64 s[52:53], 5, v60
	v_cndmask_b32_e64 v58, v252, v58, s[50:51]
	v_cmp_ne_u16_e64 s[50:51], 5, v59
	v_cndmask_b32_e64 v53, v253, v53, s[52:53]
	v_cmp_ne_u16_e64 s[52:53], 6, v60
	v_lshlrev_b16_e32 v43, 8, v141
	v_cndmask_b32_e64 v58, v253, v58, s[50:51]
	v_cmp_ne_u16_e64 s[50:51], 6, v59
	v_cndmask_b32_e64 v53, v68, v53, s[52:53]
	v_cmp_ne_u16_e64 s[52:53], 7, v60
	;; [unrolled: 2-line block ×3, first 2 shown]
	v_and_b32_e32 v43, 0xffff8000, v43
	v_cndmask_b32_e64 v53, v69, v53, s[52:53]
	v_lshlrev_b16_e32 v51, 8, v51
	v_lshlrev_b16_sdwa v54, v70, v141 dst_sel:DWORD dst_unused:UNUSED_PAD src0_sel:DWORD src1_sel:WORD_1
	v_or_b32_e32 v43, v53, v43
	v_and_b32_e32 v51, 0xffff8000, v51
	v_cndmask_b32_e64 v53, v69, v58, s[50:51]
	v_or_b32_e32 v51, v53, v51
	v_and_b32_e32 v53, 0xffff8000, v54
	v_cndmask_b32_e64 v54, v69, v55, s[48:49]
	;; [unrolled: 3-line block ×3, first 2 shown]
	v_or_b32_e32 v54, v55, v54
	.loc	1 74 33                         ; fp8_utils_aot.py:74:33
	v_perm_b32 v150, v46, v52, s13
	.loc	1 67 20                         ; fp8_utils_aot.py:67:20
	v_lshlrev_b16_sdwa v52, v71, v143 dst_sel:DWORD dst_unused:UNUSED_PAD src0_sel:DWORD src1_sel:BYTE_3
	.loc	1 74 33                         ; fp8_utils_aot.py:74:33
	v_perm_b32 v151, v50, v49, s13
	v_perm_b32 v141, v54, v53, s13
	.loc	1 67 20                         ; fp8_utils_aot.py:67:20
	v_lshlrev_b16_sdwa v50, v71, v143 dst_sel:DWORD dst_unused:UNUSED_PAD src0_sel:DWORD src1_sel:WORD_1
	v_and_b32_sdwa v53, v143, s33 dst_sel:DWORD dst_unused:UNUSED_PAD src0_sel:BYTE_3 src1_sel:DWORD
	v_and_b32_e32 v52, 0x3f80, v52
	v_and_b32_sdwa v54, v143, s33 dst_sel:DWORD dst_unused:UNUSED_PAD src0_sel:WORD_1 src1_sel:DWORD
	v_add_u16_e32 v52, 0x2000, v52
	v_cmp_ne_u16_e64 s[46:47], s33, v53
	v_and_b32_e32 v50, 0x3f80, v50
	v_add_u16_e32 v50, 0x2000, v50
	v_cndmask_b32_e64 v52, v244, v52, s[46:47]
	v_cmp_ne_u16_e64 s[46:47], 0, v53
	v_cmp_ne_u16_e64 s[48:49], s33, v54
	v_lshlrev_b16_e32 v49, 7, v143
	v_cndmask_b32_e64 v52, 0, v52, s[46:47]
	v_cmp_ne_u16_e64 s[46:47], 1, v53
	v_cndmask_b32_e64 v50, v244, v50, s[48:49]
	v_cmp_ne_u16_e64 s[48:49], 0, v54
	;; [unrolled: 2-line block ×10, first 2 shown]
	v_lshrrev_b32_e32 v55, 8, v143
	v_and_b32_e32 v56, 0x7f, v143
	v_cndmask_b32_e64 v52, v253, v52, s[46:47]
	v_cmp_ne_u16_e64 s[46:47], 6, v53
	v_cndmask_b32_e64 v50, v252, v50, s[48:49]
	v_cmp_ne_u16_e64 s[48:49], 5, v54
	v_and_b32_e32 v49, 0x3f80, v49
	v_cndmask_b32_e64 v52, v68, v52, s[46:47]
	v_cmp_ne_u16_e64 s[46:47], 7, v53
	v_cndmask_b32_e64 v50, v253, v50, s[48:49]
	v_cmp_ne_u16_e64 s[48:49], 6, v54
	v_lshlrev_b16_e32 v53, 7, v55
	v_add_u16_e32 v49, 0x2000, v49
	v_cmp_ne_u16_e64 s[52:53], s33, v56
	v_cndmask_b32_e64 v50, v68, v50, s[48:49]
	v_cmp_ne_u16_e64 s[48:49], 7, v54
	v_and_b32_e32 v53, 0x3f80, v53
	v_and_b32_e32 v54, 0x7f, v55
	v_cndmask_b32_e64 v49, v244, v49, s[52:53]
	v_cmp_ne_u16_e64 s[52:53], 0, v56
	v_add_u16_e32 v53, 0x2000, v53
	v_cmp_ne_u16_e64 s[50:51], s33, v54
	v_cndmask_b32_e64 v49, 0, v49, s[52:53]
	v_cmp_ne_u16_e64 s[52:53], 1, v56
	v_cndmask_b32_e64 v53, v244, v53, s[50:51]
	;; [unrolled: 2-line block ×11, first 2 shown]
	v_cmp_ne_u16_e64 s[52:53], 6, v56
	v_lshlrev_b16_e32 v46, 8, v143
	v_cndmask_b32_e64 v53, v252, v53, s[50:51]
	v_cmp_ne_u16_e64 s[50:51], 5, v54
	v_cndmask_b32_e64 v49, v68, v49, s[52:53]
	v_cmp_ne_u16_e64 s[52:53], 7, v56
	;; [unrolled: 2-line block ×3, first 2 shown]
	v_and_b32_e32 v46, 0xffff8000, v46
	v_cndmask_b32_e64 v49, v69, v49, s[52:53]
	v_cndmask_b32_e64 v53, v68, v53, s[50:51]
	v_cmp_ne_u16_e64 s[50:51], 7, v54
	v_or_b32_e32 v46, v49, v46
	v_lshlrev_b16_e32 v49, 8, v55
	v_and_b32_e32 v49, 0xffff8000, v49
	v_cndmask_b32_e64 v53, v69, v53, s[50:51]
	v_or_b32_e32 v49, v53, v49
	v_lshrrev_b32_e32 v54, 8, v129
	.loc	1 74 33                         ; fp8_utils_aot.py:74:33
	v_perm_b32 v142, v49, v46, s13
	.loc	1 66 20                         ; fp8_utils_aot.py:66:20
	v_lshlrev_b16_e32 v46, 7, v54
	v_and_b32_e32 v46, 0x3f80, v46
	v_and_b32_e32 v49, 0x7f, v54
	.loc	1 67 20                         ; fp8_utils_aot.py:67:20
	v_cndmask_b32_e64 v52, v69, v52, s[46:47]
	.loc	1 66 20                         ; fp8_utils_aot.py:66:20
	v_add_u16_e32 v46, 0x2000, v46
	v_cmp_ne_u16_e64 s[46:47], s33, v49
	.loc	1 74 33                         ; fp8_utils_aot.py:74:33
	v_perm_b32 v140, v51, v43, s13
	.loc	1 67 20                         ; fp8_utils_aot.py:67:20
	v_lshlrev_b16_sdwa v51, v70, v143 dst_sel:DWORD dst_unused:UNUSED_PAD src0_sel:DWORD src1_sel:BYTE_3
	.loc	1 66 20                         ; fp8_utils_aot.py:66:20
	v_cndmask_b32_e64 v46, v244, v46, s[46:47]
	v_cmp_ne_u16_e64 s[46:47], 0, v49
	.loc	1 67 20                         ; fp8_utils_aot.py:67:20
	v_and_b32_e32 v51, 0xffff8000, v51
	v_or_b32_e32 v51, v52, v51
	.loc	1 66 20                         ; fp8_utils_aot.py:66:20
	v_cndmask_b32_e64 v46, 0, v46, s[46:47]
	v_cmp_ne_u16_e64 s[46:47], 1, v49
	v_lshlrev_b16_e32 v52, 7, v129
	v_and_b32_e32 v52, 0x3f80, v52
	v_cndmask_b32_e64 v46, v245, v46, s[46:47]
	v_cmp_ne_u16_e64 s[46:47], 2, v49
	.loc	1 67 20                         ; fp8_utils_aot.py:67:20
	v_cndmask_b32_e64 v50, v69, v50, s[48:49]
	v_lshlrev_b16_sdwa v43, v70, v143 dst_sel:DWORD dst_unused:UNUSED_PAD src0_sel:DWORD src1_sel:WORD_1
	.loc	1 66 20                         ; fp8_utils_aot.py:66:20
	v_cndmask_b32_e64 v46, v246, v46, s[46:47]
	v_cmp_ne_u16_e64 s[46:47], 3, v49
	.loc	1 67 20                         ; fp8_utils_aot.py:67:20
	v_and_b32_e32 v43, 0xffff8000, v43
	v_or_b32_e32 v50, v50, v43
	.loc	1 66 20                         ; fp8_utils_aot.py:66:20
	v_cndmask_b32_e64 v46, v247, v46, s[46:47]
	v_cmp_ne_u16_e64 s[46:47], 4, v49
	.loc	1 74 33                         ; fp8_utils_aot.py:74:33
	v_perm_b32 v143, v51, v50, s13
	.loc	1 66 20                         ; fp8_utils_aot.py:66:20
	v_lshlrev_b16_sdwa v50, v71, v129 dst_sel:DWORD dst_unused:UNUSED_PAD src0_sel:DWORD src1_sel:BYTE_3
	v_cndmask_b32_e64 v46, v252, v46, s[46:47]
	v_cmp_ne_u16_e64 s[46:47], 5, v49
	v_and_b32_sdwa v51, v129, s33 dst_sel:DWORD dst_unused:UNUSED_PAD src0_sel:BYTE_3 src1_sel:DWORD
	v_and_b32_e32 v50, 0x3f80, v50
	v_cndmask_b32_e64 v46, v253, v46, s[46:47]
	v_cmp_ne_u16_e64 s[46:47], 6, v49
	.loc	1 67 20                         ; fp8_utils_aot.py:67:20
	v_lshlrev_b16_sdwa v56, v71, v149 dst_sel:DWORD dst_unused:UNUSED_PAD src0_sel:DWORD src1_sel:BYTE_3
	.loc	1 66 20                         ; fp8_utils_aot.py:66:20
	v_add_u16_e32 v50, 0x2000, v50
	v_cndmask_b32_e64 v55, v68, v46, s[46:47]
	v_and_b32_e32 v46, 0x7f, v129
	v_cmp_ne_u16_e64 s[46:47], 7, v49
	v_add_u16_e32 v49, 0x2000, v52
	v_cmp_ne_u16_e64 s[48:49], s33, v46
	v_cmp_ne_u16_e64 s[50:51], s33, v51
	.loc	1 67 20                         ; fp8_utils_aot.py:67:20
	v_lshlrev_b16_sdwa v52, v71, v149 dst_sel:DWORD dst_unused:UNUSED_PAD src0_sel:DWORD src1_sel:WORD_1
	.loc	1 66 20                         ; fp8_utils_aot.py:66:20
	v_cndmask_b32_e64 v49, v244, v49, s[48:49]
	v_cmp_ne_u16_e64 s[48:49], 0, v46
	.loc	1 67 20                         ; fp8_utils_aot.py:67:20
	v_and_b32_sdwa v58, v149, s33 dst_sel:DWORD dst_unused:UNUSED_PAD src0_sel:BYTE_3 src1_sel:DWORD
	v_and_b32_e32 v56, 0x3f80, v56
	.loc	1 66 20                         ; fp8_utils_aot.py:66:20
	v_cndmask_b32_e64 v49, 0, v49, s[48:49]
	v_cmp_ne_u16_e64 s[48:49], 1, v46
	v_cndmask_b32_e64 v50, v244, v50, s[50:51]
	v_cmp_ne_u16_e64 s[50:51], 0, v51
	v_cndmask_b32_e64 v49, v245, v49, s[48:49]
	v_cmp_ne_u16_e64 s[48:49], 2, v46
	.loc	1 67 20                         ; fp8_utils_aot.py:67:20
	v_and_b32_sdwa v60, v149, s33 dst_sel:DWORD dst_unused:UNUSED_PAD src0_sel:WORD_1 src1_sel:DWORD
	v_add_u16_e32 v56, 0x2000, v56
	.loc	1 66 20                         ; fp8_utils_aot.py:66:20
	v_cndmask_b32_e64 v49, v246, v49, s[48:49]
	v_cmp_ne_u16_e64 s[48:49], 3, v46
	.loc	1 67 20                         ; fp8_utils_aot.py:67:20
	v_cmp_ne_u16_e64 s[54:55], s33, v58
	v_and_b32_e32 v52, 0x3f80, v52
	.loc	1 66 20                         ; fp8_utils_aot.py:66:20
	v_cndmask_b32_e64 v49, v247, v49, s[48:49]
	v_cmp_ne_u16_e64 s[48:49], 4, v46
	v_cndmask_b32_e64 v50, 0, v50, s[50:51]
	v_cmp_ne_u16_e64 s[50:51], 1, v51
	;; [unrolled: 2-line block ×3, first 2 shown]
	.loc	1 67 20                         ; fp8_utils_aot.py:67:20
	v_cndmask_b32_e64 v56, v244, v56, s[54:55]
	v_cmp_ne_u16_e64 s[54:55], 0, v58
	.loc	1 66 20                         ; fp8_utils_aot.py:66:20
	v_cndmask_b32_e64 v49, v253, v49, s[48:49]
	v_cmp_ne_u16_e64 s[48:49], 6, v46
	.loc	1 67 20                         ; fp8_utils_aot.py:67:20
	v_add_u16_e32 v52, 0x2000, v52
	v_cmp_ne_u16_e64 s[58:59], s33, v60
	.loc	1 66 20                         ; fp8_utils_aot.py:66:20
	v_cndmask_b32_e64 v57, v68, v49, s[48:49]
	v_cmp_ne_u16_e64 s[48:49], 7, v46
	v_lshlrev_b16_sdwa v46, v71, v129 dst_sel:DWORD dst_unused:UNUSED_PAD src0_sel:DWORD src1_sel:WORD_1
	v_and_b32_sdwa v49, v129, s33 dst_sel:DWORD dst_unused:UNUSED_PAD src0_sel:WORD_1 src1_sel:DWORD
	v_and_b32_e32 v46, 0x3f80, v46
	v_add_u16_e32 v46, 0x2000, v46
	v_cmp_ne_u16_e64 s[52:53], s33, v49
	v_cndmask_b32_e64 v50, v245, v50, s[50:51]
	v_cmp_ne_u16_e64 s[50:51], 2, v51
	v_cndmask_b32_e64 v46, v244, v46, s[52:53]
	v_cmp_ne_u16_e64 s[52:53], 0, v49
	.loc	1 67 20                         ; fp8_utils_aot.py:67:20
	v_cndmask_b32_e64 v56, 0, v56, s[54:55]
	v_cmp_ne_u16_e64 s[54:55], 1, v58
	.loc	1 66 20                         ; fp8_utils_aot.py:66:20
	;; [unrolled: 3-line block ×4, first 2 shown]
	v_cndmask_b32_e64 v46, v245, v46, s[52:53]
	v_cmp_ne_u16_e64 s[52:53], 2, v49
	v_cndmask_b32_e64 v50, v246, v50, s[50:51]
	v_cmp_ne_u16_e64 s[50:51], 3, v51
	;; [unrolled: 2-line block ×3, first 2 shown]
	.loc	1 67 20                         ; fp8_utils_aot.py:67:20
	v_cndmask_b32_e64 v56, v245, v56, s[54:55]
	v_cmp_ne_u16_e64 s[54:55], 2, v58
	v_cndmask_b32_e64 v52, 0, v52, s[58:59]
	v_cmp_ne_u16_e64 s[58:59], 1, v60
	.loc	1 66 20                         ; fp8_utils_aot.py:66:20
	v_cndmask_b32_e64 v50, v247, v50, s[50:51]
	v_cmp_ne_u16_e64 s[50:51], 4, v51
	v_cndmask_b32_e64 v46, v247, v46, s[52:53]
	v_cmp_ne_u16_e64 s[52:53], 4, v49
	;; [unrolled: 5-line block ×7, first 2 shown]
	.loc	1 66 20                         ; fp8_utils_aot.py:66:20
	v_cndmask_b32_e64 v59, v68, v50, s[50:51]
	v_cndmask_b32_e64 v61, v68, v46, s[52:53]
	.loc	1 67 20                         ; fp8_utils_aot.py:67:20
	v_lshrrev_b32_e32 v46, 8, v149
	v_lshlrev_b16_e32 v50, 7, v149
	v_cndmask_b32_e64 v56, v253, v56, s[54:55]
	v_cmp_ne_u16_e64 s[54:55], 6, v58
	v_cndmask_b32_e64 v52, v252, v52, s[58:59]
	v_cmp_ne_u16_e64 s[58:59], 5, v60
	v_and_b32_e32 v62, 0x7f, v149
	v_cndmask_b32_e64 v56, v68, v56, s[54:55]
	v_cmp_ne_u16_e64 s[54:55], 7, v58
	v_cndmask_b32_e64 v52, v253, v52, s[58:59]
	v_cmp_ne_u16_e64 s[58:59], 6, v60
	v_lshlrev_b16_e32 v58, 7, v46
	v_and_b32_e32 v50, 0x3f80, v50
	v_cndmask_b32_e64 v52, v68, v52, s[58:59]
	v_cmp_ne_u16_e64 s[58:59], 7, v60
	v_and_b32_e32 v58, 0x3f80, v58
	v_and_b32_e32 v60, 0x7f, v46
	v_add_u16_e32 v50, 0x2000, v50
	v_cmp_ne_u16_e64 s[64:65], s33, v62
	v_add_u16_e32 v58, 0x2000, v58
	v_cmp_ne_u16_e64 s[62:63], s33, v60
	v_cndmask_b32_e64 v50, v244, v50, s[64:65]
	v_cmp_ne_u16_e64 s[64:65], 0, v62
	v_cndmask_b32_e64 v58, v244, v58, s[62:63]
	;; [unrolled: 2-line block ×13, first 2 shown]
	v_cmp_ne_u16_e64 s[64:65], 6, v62
	.loc	1 66 20                         ; fp8_utils_aot.py:66:20
	v_cmp_ne_u16_e64 s[52:53], 7, v49
	.loc	1 67 20                         ; fp8_utils_aot.py:67:20
	v_lshlrev_b16_e32 v49, 8, v149
	v_cndmask_b32_e64 v58, v253, v58, s[62:63]
	v_cmp_ne_u16_e64 s[62:63], 6, v60
	v_cndmask_b32_e64 v50, v68, v50, s[64:65]
	v_cmp_ne_u16_e64 s[64:65], 7, v62
	;; [unrolled: 2-line block ×3, first 2 shown]
	v_and_b32_e32 v49, 0xffff8000, v49
	v_cndmask_b32_e64 v50, v69, v50, s[64:65]
	v_lshlrev_b16_e32 v46, 8, v46
	.loc	1 66 20                         ; fp8_utils_aot.py:66:20
	v_cmp_ne_u16_e64 s[50:51], 7, v51
	.loc	1 67 20                         ; fp8_utils_aot.py:67:20
	v_lshlrev_b16_sdwa v51, v70, v149 dst_sel:DWORD dst_unused:UNUSED_PAD src0_sel:DWORD src1_sel:WORD_1
	v_or_b32_e32 v49, v50, v49
	v_and_b32_e32 v46, 0xffff8000, v46
	v_cndmask_b32_e64 v50, v69, v58, s[62:63]
	v_lshlrev_b16_sdwa v53, v70, v149 dst_sel:DWORD dst_unused:UNUSED_PAD src0_sel:DWORD src1_sel:BYTE_3
	v_or_b32_e32 v46, v50, v46
	v_and_b32_e32 v50, 0xffff8000, v51
	v_cndmask_b32_e64 v51, v69, v52, s[58:59]
	v_or_b32_e32 v50, v51, v50
	v_and_b32_e32 v51, 0xffff8000, v53
	v_cndmask_b32_e64 v52, v69, v56, s[54:55]
	v_lshrrev_b32_e32 v62, 8, v127
	v_or_b32_e32 v51, v52, v51
	.loc	1 74 33                         ; fp8_utils_aot.py:74:33
	v_perm_b32 v128, v46, v49, s13
	.loc	1 66 20                         ; fp8_utils_aot.py:66:20
	v_lshlrev_b16_e32 v49, 7, v62
	v_lshlrev_b16_e32 v43, 8, v129
	v_lshlrev_b16_sdwa v88, v70, v129 dst_sel:DWORD dst_unused:UNUSED_PAD src0_sel:DWORD src1_sel:WORD_1
	v_lshlrev_b16_sdwa v95, v70, v129 dst_sel:DWORD dst_unused:UNUSED_PAD src0_sel:DWORD src1_sel:BYTE_3
	.loc	1 74 33                         ; fp8_utils_aot.py:74:33
	v_perm_b32 v129, v51, v50, s13
	.loc	1 66 20                         ; fp8_utils_aot.py:66:20
	v_and_b32_e32 v49, 0x3f80, v49
	v_and_b32_e32 v50, 0x7f, v62
	v_add_u16_e32 v49, 0x2000, v49
	v_cmp_ne_u16_e64 s[54:55], s33, v50
	v_lshlrev_b16_e32 v46, 7, v127
	v_and_b32_e32 v46, 0x3f80, v46
	v_cndmask_b32_e64 v49, v244, v49, s[54:55]
	v_cmp_ne_u16_e64 s[54:55], 0, v50
	v_add_u16_e32 v46, 0x2000, v46
	v_lshrrev_b32_e32 v182, 8, v125
	v_cndmask_b32_e64 v49, 0, v49, s[54:55]
	v_cmp_ne_u16_e64 s[54:55], 1, v50
	v_and_b32_sdwa v51, v127, s33 dst_sel:DWORD dst_unused:UNUSED_PAD src0_sel:BYTE_3 src1_sel:DWORD
	.loc	1 67 20                         ; fp8_utils_aot.py:67:20
	v_lshlrev_b16_sdwa v56, v71, v179 dst_sel:DWORD dst_unused:UNUSED_PAD src0_sel:DWORD src1_sel:BYTE_3
	.loc	1 66 20                         ; fp8_utils_aot.py:66:20
	v_cndmask_b32_e64 v49, v245, v49, s[54:55]
	v_cmp_ne_u16_e64 s[54:55], 2, v50
	v_cmp_ne_u16_e64 s[62:63], s33, v51
	.loc	1 67 20                         ; fp8_utils_aot.py:67:20
	v_lshlrev_b16_sdwa v52, v71, v179 dst_sel:DWORD dst_unused:UNUSED_PAD src0_sel:DWORD src1_sel:WORD_1
	.loc	1 66 20                         ; fp8_utils_aot.py:66:20
	v_cndmask_b32_e64 v49, v246, v49, s[54:55]
	v_cmp_ne_u16_e64 s[54:55], 3, v50
	.loc	1 67 20                         ; fp8_utils_aot.py:67:20
	v_and_b32_sdwa v58, v179, s33 dst_sel:DWORD dst_unused:UNUSED_PAD src0_sel:BYTE_3 src1_sel:DWORD
	v_and_b32_e32 v56, 0x3f80, v56
	.loc	1 66 20                         ; fp8_utils_aot.py:66:20
	v_cndmask_b32_e64 v49, v247, v49, s[54:55]
	v_cmp_ne_u16_e64 s[54:55], 4, v50
	.loc	1 67 20                         ; fp8_utils_aot.py:67:20
	v_and_b32_sdwa v60, v179, s33 dst_sel:DWORD dst_unused:UNUSED_PAD src0_sel:WORD_1 src1_sel:DWORD
	v_add_u16_e32 v56, 0x2000, v56
	.loc	1 66 20                         ; fp8_utils_aot.py:66:20
	v_cndmask_b32_e64 v49, v252, v49, s[54:55]
	v_cmp_ne_u16_e64 s[54:55], 5, v50
	.loc	1 67 20                         ; fp8_utils_aot.py:67:20
	v_cmp_ne_u16_e64 s[70:71], s33, v58
	v_and_b32_e32 v52, 0x3f80, v52
	.loc	1 66 20                         ; fp8_utils_aot.py:66:20
	v_cndmask_b32_e64 v49, v253, v49, s[54:55]
	v_cmp_ne_u16_e64 s[54:55], 6, v50
	.loc	1 67 20                         ; fp8_utils_aot.py:67:20
	v_cndmask_b32_e64 v56, v244, v56, s[70:71]
	v_cmp_ne_u16_e64 s[70:71], 0, v58
	.loc	1 66 20                         ; fp8_utils_aot.py:66:20
	v_cndmask_b32_e64 v63, v68, v49, s[54:55]
	v_and_b32_e32 v49, 0x7f, v127
	v_cmp_ne_u16_e64 s[58:59], s33, v49
	v_cmp_ne_u16_e64 s[54:55], 7, v50
	v_lshlrev_b16_sdwa v50, v71, v127 dst_sel:DWORD dst_unused:UNUSED_PAD src0_sel:DWORD src1_sel:BYTE_3
	v_cndmask_b32_e64 v46, v244, v46, s[58:59]
	v_cmp_ne_u16_e64 s[58:59], 0, v49
	v_and_b32_e32 v50, 0x3f80, v50
	v_add_u16_e32 v50, 0x2000, v50
	v_cndmask_b32_e64 v46, 0, v46, s[58:59]
	v_cmp_ne_u16_e64 s[58:59], 1, v49
	v_cndmask_b32_e64 v50, v244, v50, s[62:63]
	v_cmp_ne_u16_e64 s[62:63], 0, v51
	;; [unrolled: 2-line block ×5, first 2 shown]
	.loc	1 67 20                         ; fp8_utils_aot.py:67:20
	v_add_u16_e32 v52, 0x2000, v52
	v_cmp_ne_u16_e64 s[72:73], s33, v60
	.loc	1 66 20                         ; fp8_utils_aot.py:66:20
	v_cndmask_b32_e64 v46, v247, v46, s[58:59]
	v_cmp_ne_u16_e64 s[58:59], 4, v49
	v_cndmask_b32_e64 v50, v245, v50, s[62:63]
	v_cmp_ne_u16_e64 s[62:63], 2, v51
	;; [unrolled: 2-line block ×3, first 2 shown]
	.loc	1 67 20                         ; fp8_utils_aot.py:67:20
	v_cndmask_b32_e64 v56, 0, v56, s[70:71]
	v_cmp_ne_u16_e64 s[70:71], 1, v58
	.loc	1 66 20                         ; fp8_utils_aot.py:66:20
	v_cndmask_b32_e64 v46, v253, v46, s[58:59]
	v_cmp_ne_u16_e64 s[58:59], 6, v49
	;; [unrolled: 3-line block ×3, first 2 shown]
	.loc	1 66 20                         ; fp8_utils_aot.py:66:20
	v_cndmask_b32_e64 v64, v68, v46, s[58:59]
	v_lshlrev_b16_sdwa v46, v71, v127 dst_sel:DWORD dst_unused:UNUSED_PAD src0_sel:DWORD src1_sel:WORD_1
	v_cmp_ne_u16_e64 s[58:59], 7, v49
	v_and_b32_sdwa v49, v127, s33 dst_sel:DWORD dst_unused:UNUSED_PAD src0_sel:WORD_1 src1_sel:DWORD
	v_and_b32_e32 v46, 0x3f80, v46
	v_add_u16_e32 v46, 0x2000, v46
	v_cmp_ne_u16_e64 s[64:65], s33, v49
	v_cndmask_b32_e64 v50, v246, v50, s[62:63]
	v_cmp_ne_u16_e64 s[62:63], 3, v51
	v_cndmask_b32_e64 v46, v244, v46, s[64:65]
	v_cmp_ne_u16_e64 s[64:65], 0, v49
	.loc	1 67 20                         ; fp8_utils_aot.py:67:20
	v_cndmask_b32_e64 v56, v245, v56, s[70:71]
	v_cmp_ne_u16_e64 s[70:71], 2, v58
	.loc	1 66 20                         ; fp8_utils_aot.py:66:20
	;; [unrolled: 3-line block ×4, first 2 shown]
	v_cndmask_b32_e64 v46, v245, v46, s[64:65]
	v_cmp_ne_u16_e64 s[64:65], 2, v49
	v_cndmask_b32_e64 v50, v247, v50, s[62:63]
	v_cmp_ne_u16_e64 s[62:63], 4, v51
	v_cndmask_b32_e64 v46, v246, v46, s[64:65]
	v_cmp_ne_u16_e64 s[64:65], 3, v49
	.loc	1 67 20                         ; fp8_utils_aot.py:67:20
	v_cndmask_b32_e64 v56, v246, v56, s[70:71]
	v_cmp_ne_u16_e64 s[70:71], 3, v58
	.loc	1 66 20                         ; fp8_utils_aot.py:66:20
	v_cndmask_b32_e64 v46, v247, v46, s[64:65]
	v_cmp_ne_u16_e64 s[64:65], 4, v49
	;; [unrolled: 3-line block ×4, first 2 shown]
	v_cndmask_b32_e64 v50, v252, v50, s[62:63]
	v_cmp_ne_u16_e64 s[62:63], 5, v51
	v_cndmask_b32_e64 v46, v253, v46, s[64:65]
	v_cmp_ne_u16_e64 s[64:65], 6, v49
	.loc	1 67 20                         ; fp8_utils_aot.py:67:20
	v_cndmask_b32_e64 v56, v247, v56, s[70:71]
	v_cmp_ne_u16_e64 s[70:71], 4, v58
	.loc	1 66 20                         ; fp8_utils_aot.py:66:20
	v_cndmask_b32_e64 v180, v68, v46, s[64:65]
	v_lshlrev_b16_e32 v46, 7, v182
	v_cmp_ne_u16_e64 s[64:65], 7, v49
	v_and_b32_e32 v46, 0x3f80, v46
	v_and_b32_e32 v49, 0x7f, v182
	v_add_u16_e32 v46, 0x2000, v46
	v_cmp_ne_u16_e64 s[66:67], s33, v49
	.loc	1 67 20                         ; fp8_utils_aot.py:67:20
	v_cndmask_b32_e64 v52, v246, v52, s[72:73]
	v_cmp_ne_u16_e64 s[72:73], 3, v60
	.loc	1 66 20                         ; fp8_utils_aot.py:66:20
	v_cndmask_b32_e64 v46, v244, v46, s[66:67]
	v_cmp_ne_u16_e64 s[66:67], 0, v49
	v_cndmask_b32_e64 v50, v253, v50, s[62:63]
	v_cmp_ne_u16_e64 s[62:63], 6, v51
	;; [unrolled: 2-line block ×3, first 2 shown]
	.loc	1 67 20                         ; fp8_utils_aot.py:67:20
	v_cndmask_b32_e64 v56, v252, v56, s[70:71]
	v_cmp_ne_u16_e64 s[70:71], 5, v58
	.loc	1 66 20                         ; fp8_utils_aot.py:66:20
	v_cndmask_b32_e64 v46, v245, v46, s[66:67]
	v_cmp_ne_u16_e64 s[66:67], 2, v49
	.loc	1 67 20                         ; fp8_utils_aot.py:67:20
	v_cndmask_b32_e64 v52, v247, v52, s[72:73]
	v_cmp_ne_u16_e64 s[72:73], 4, v60
	.loc	1 66 20                         ; fp8_utils_aot.py:66:20
	v_cndmask_b32_e64 v46, v246, v46, s[66:67]
	v_cmp_ne_u16_e64 s[66:67], 3, v49
	v_cndmask_b32_e64 v65, v68, v50, s[62:63]
	.loc	1 67 20                         ; fp8_utils_aot.py:67:20
	v_lshlrev_b16_e32 v50, 7, v179
	.loc	1 66 20                         ; fp8_utils_aot.py:66:20
	v_cndmask_b32_e64 v46, v247, v46, s[66:67]
	v_cmp_ne_u16_e64 s[66:67], 4, v49
	.loc	1 67 20                         ; fp8_utils_aot.py:67:20
	v_cndmask_b32_e64 v56, v253, v56, s[70:71]
	v_cmp_ne_u16_e64 s[70:71], 6, v58
	;; [unrolled: 3-line block ×5, first 2 shown]
	.loc	1 67 20                         ; fp8_utils_aot.py:67:20
	v_and_b32_e32 v126, 0x7f, v179
	v_cndmask_b32_e64 v56, v68, v56, s[70:71]
	.loc	1 66 20                         ; fp8_utils_aot.py:66:20
	v_cndmask_b32_e64 v184, v68, v46, s[66:67]
	v_lshlrev_b16_e32 v46, 7, v125
	v_cmp_ne_u16_e64 s[66:67], 7, v49
	v_and_b32_e32 v46, 0x3f80, v46
	v_and_b32_e32 v49, 0x7f, v125
	v_add_u16_e32 v46, 0x2000, v46
	v_cmp_ne_u16_e64 s[68:69], s33, v49
	.loc	1 67 20                         ; fp8_utils_aot.py:67:20
	v_cmp_ne_u16_e64 s[70:71], 7, v58
	v_cndmask_b32_e64 v52, v253, v52, s[72:73]
	.loc	1 66 20                         ; fp8_utils_aot.py:66:20
	v_cndmask_b32_e64 v46, v244, v46, s[68:69]
	v_cmp_ne_u16_e64 s[68:69], 0, v49
	.loc	1 67 20                         ; fp8_utils_aot.py:67:20
	v_cmp_ne_u16_e64 s[72:73], 6, v60
	v_and_b32_e32 v50, 0x3f80, v50
	.loc	1 66 20                         ; fp8_utils_aot.py:66:20
	v_cndmask_b32_e64 v46, 0, v46, s[68:69]
	v_cmp_ne_u16_e64 s[68:69], 1, v49
	.loc	1 67 20                         ; fp8_utils_aot.py:67:20
	v_cndmask_b32_e64 v52, v68, v52, s[72:73]
	v_cmp_ne_u16_e64 s[72:73], 7, v60
	;; [unrolled: 3-line block ×3, first 2 shown]
	.loc	1 67 20                         ; fp8_utils_aot.py:67:20
	v_add_u16_e32 v50, 0x2000, v50
	v_cmp_ne_u16_e64 s[76:77], s33, v126
	.loc	1 66 20                         ; fp8_utils_aot.py:66:20
	v_cndmask_b32_e64 v46, v246, v46, s[68:69]
	v_cmp_ne_u16_e64 s[68:69], 3, v49
	.loc	1 67 20                         ; fp8_utils_aot.py:67:20
	v_cndmask_b32_e64 v50, v244, v50, s[76:77]
	;; [unrolled: 3-line block ×9, first 2 shown]
	.loc	1 67 20                         ; fp8_utils_aot.py:67:20
	v_lshrrev_b32_e32 v46, 8, v179
	v_lshlrev_b16_e32 v58, 7, v46
	v_and_b32_e32 v58, 0x3f80, v58
	v_and_b32_e32 v60, 0x7f, v46
	v_add_u16_e32 v58, 0x2000, v58
	v_cmp_ne_u16_e64 s[74:75], s33, v60
	v_cndmask_b32_e64 v50, v247, v50, s[76:77]
	v_cmp_ne_u16_e64 s[76:77], 4, v126
	v_cndmask_b32_e64 v58, v244, v58, s[74:75]
	;; [unrolled: 2-line block ×6, first 2 shown]
	v_cmp_ne_u16_e64 s[74:75], 2, v60
	.loc	1 66 20                         ; fp8_utils_aot.py:66:20
	v_cmp_ne_u16_e64 s[68:69], 7, v49
	.loc	1 67 20                         ; fp8_utils_aot.py:67:20
	v_lshlrev_b16_e32 v49, 8, v179
	v_cndmask_b32_e64 v58, v246, v58, s[74:75]
	v_cmp_ne_u16_e64 s[74:75], 3, v60
	v_cndmask_b32_e64 v50, v68, v50, s[76:77]
	v_cmp_ne_u16_e64 s[76:77], 7, v126
	;; [unrolled: 2-line block ×3, first 2 shown]
	.loc	1 66 20                         ; fp8_utils_aot.py:66:20
	v_lshlrev_b16_e32 v103, 8, v127
	v_lshlrev_b16_sdwa v105, v70, v127 dst_sel:DWORD dst_unused:UNUSED_PAD src0_sel:DWORD src1_sel:WORD_1
	.loc	1 67 20                         ; fp8_utils_aot.py:67:20
	v_cndmask_b32_e64 v58, v252, v58, s[74:75]
	v_cmp_ne_u16_e64 s[74:75], 5, v60
	v_and_b32_e32 v49, 0xffff8000, v49
	v_cndmask_b32_e64 v50, v69, v50, s[76:77]
	v_cndmask_b32_e64 v58, v253, v58, s[74:75]
	v_cmp_ne_u16_e64 s[74:75], 6, v60
	v_lshlrev_b16_e32 v46, 8, v46
	v_lshlrev_b16_sdwa v127, v71, v181 dst_sel:DWORD dst_unused:UNUSED_PAD src0_sel:DWORD src1_sel:BYTE_3
	v_cndmask_b32_e64 v58, v68, v58, s[74:75]
	v_cmp_ne_u16_e64 s[74:75], 7, v60
	.loc	1 66 20                         ; fp8_utils_aot.py:66:20
	v_cmp_ne_u16_e64 s[62:63], 7, v51
	.loc	1 67 20                         ; fp8_utils_aot.py:67:20
	v_lshlrev_b16_sdwa v51, v70, v179 dst_sel:DWORD dst_unused:UNUSED_PAD src0_sel:DWORD src1_sel:WORD_1
	v_or_b32_e32 v49, v50, v49
	v_and_b32_e32 v46, 0xffff8000, v46
	v_cndmask_b32_e64 v50, v69, v58, s[74:75]
	v_lshlrev_b16_sdwa v60, v71, v181 dst_sel:DWORD dst_unused:UNUSED_PAD src0_sel:DWORD src1_sel:WORD_1
	v_and_b32_e32 v127, 0x3f80, v127
	v_or_b32_e32 v46, v50, v46
	v_and_b32_e32 v50, 0xffff8000, v51
	v_cndmask_b32_e64 v51, v69, v52, s[72:73]
	v_cndmask_b32_e64 v52, v69, v56, s[70:71]
	v_add_u16_e32 v127, 0x2000, v127
	v_cmp_ne_u16_e64 s[70:71], s33, v144
	v_and_b32_e32 v60, 0x3f80, v60
	v_add_u16_e32 v60, 0x2000, v60
	v_cndmask_b32_e64 v127, v244, v127, s[70:71]
	v_cmp_ne_u16_e64 s[70:71], 0, v144
	v_cmp_ne_u16_e64 s[72:73], s33, v145
	v_lshlrev_b16_sdwa v53, v70, v179 dst_sel:DWORD dst_unused:UNUSED_PAD src0_sel:DWORD src1_sel:BYTE_3
	v_cndmask_b32_e64 v127, 0, v127, s[70:71]
	v_cmp_ne_u16_e64 s[70:71], 1, v144
	v_cndmask_b32_e64 v60, v244, v60, s[72:73]
	v_cmp_ne_u16_e64 s[72:73], 0, v145
	;; [unrolled: 2-line block ×8, first 2 shown]
	v_or_b32_e32 v50, v51, v50
	v_and_b32_e32 v51, 0xffff8000, v53
	v_cndmask_b32_e64 v127, v252, v127, s[70:71]
	v_cmp_ne_u16_e64 s[70:71], 5, v144
	v_cndmask_b32_e64 v60, v247, v60, s[72:73]
	v_cmp_ne_u16_e64 s[72:73], 4, v145
	v_or_b32_e32 v51, v52, v51
	v_lshrrev_b32_e32 v52, 8, v181
	v_lshlrev_b16_e32 v56, 7, v181
	v_cndmask_b32_e64 v127, v253, v127, s[70:71]
	v_cmp_ne_u16_e64 s[70:71], 6, v144
	v_cndmask_b32_e64 v60, v252, v60, s[72:73]
	v_cmp_ne_u16_e64 s[72:73], 5, v145
	v_cndmask_b32_e64 v127, v68, v127, s[70:71]
	v_cmp_ne_u16_e64 s[70:71], 7, v144
	v_cndmask_b32_e64 v60, v253, v60, s[72:73]
	v_cmp_ne_u16_e64 s[72:73], 6, v145
	v_lshlrev_b16_e32 v144, 7, v52
	v_and_b32_e32 v56, 0x3f80, v56
	v_cndmask_b32_e64 v60, v68, v60, s[72:73]
	v_cmp_ne_u16_e64 s[72:73], 7, v145
	v_and_b32_e32 v144, 0x3f80, v144
	v_and_b32_e32 v145, 0x7f, v52
	v_add_u16_e32 v56, 0x2000, v56
	v_cmp_ne_u16_e64 s[76:77], s33, v146
	v_add_u16_e32 v144, 0x2000, v144
	v_cmp_ne_u16_e64 s[74:75], s33, v145
	v_cndmask_b32_e64 v56, v244, v56, s[76:77]
	v_cmp_ne_u16_e64 s[76:77], 0, v146
	v_cndmask_b32_e64 v144, v244, v144, s[74:75]
	;; [unrolled: 2-line block ×13, first 2 shown]
	v_cmp_ne_u16_e64 s[76:77], 6, v146
	v_lshlrev_b16_e32 v53, 8, v181
	v_cndmask_b32_e64 v144, v253, v144, s[74:75]
	v_cmp_ne_u16_e64 s[74:75], 6, v145
	v_cndmask_b32_e64 v56, v68, v56, s[76:77]
	v_cmp_ne_u16_e64 s[76:77], 7, v146
	;; [unrolled: 2-line block ×3, first 2 shown]
	v_and_b32_e32 v53, 0xffff8000, v53
	v_cndmask_b32_e64 v56, v69, v56, s[76:77]
	v_lshlrev_b16_e32 v52, 8, v52
	v_lshlrev_b16_sdwa v58, v70, v181 dst_sel:DWORD dst_unused:UNUSED_PAD src0_sel:DWORD src1_sel:WORD_1
	v_or_b32_e32 v53, v56, v53
	v_and_b32_e32 v52, 0xffff8000, v52
	v_cndmask_b32_e64 v56, v69, v144, s[74:75]
	v_lshlrev_b16_sdwa v145, v71, v183 dst_sel:DWORD dst_unused:UNUSED_PAD src0_sel:DWORD src1_sel:WORD_1
	v_or_b32_e32 v52, v56, v52
	v_and_b32_e32 v56, 0xffff8000, v58
	v_cndmask_b32_e64 v58, v69, v60, s[72:73]
	v_cndmask_b32_e64 v60, v69, v127, s[70:71]
	v_and_b32_sdwa v149, v183, s33 dst_sel:DWORD dst_unused:UNUSED_PAD src0_sel:WORD_1 src1_sel:DWORD
	v_cmp_ne_u16_e64 s[70:71], s33, v148
	v_and_b32_e32 v145, 0x3f80, v145
	v_add_u16_e32 v145, 0x2000, v145
	v_cndmask_b32_e64 v147, v244, v147, s[70:71]
	v_cmp_ne_u16_e64 s[70:71], 0, v148
	v_cmp_ne_u16_e64 s[72:73], s33, v149
	v_lshlrev_b16_sdwa v126, v70, v181 dst_sel:DWORD dst_unused:UNUSED_PAD src0_sel:DWORD src1_sel:BYTE_3
	v_cndmask_b32_e64 v147, 0, v147, s[70:71]
	v_cmp_ne_u16_e64 s[70:71], 1, v148
	v_cndmask_b32_e64 v145, v244, v145, s[72:73]
	v_cmp_ne_u16_e64 s[72:73], 0, v149
	;; [unrolled: 2-line block ×8, first 2 shown]
	v_or_b32_e32 v56, v58, v56
	v_and_b32_e32 v58, 0xffff8000, v126
	v_cndmask_b32_e64 v147, v252, v147, s[70:71]
	v_cmp_ne_u16_e64 s[70:71], 5, v148
	v_cndmask_b32_e64 v145, v247, v145, s[72:73]
	v_cmp_ne_u16_e64 s[72:73], 4, v149
	v_or_b32_e32 v58, v60, v58
	v_lshrrev_b32_e32 v60, 8, v183
	v_lshlrev_b16_e32 v127, 7, v183
	v_cndmask_b32_e64 v147, v253, v147, s[70:71]
	v_cmp_ne_u16_e64 s[70:71], 6, v148
	v_cndmask_b32_e64 v145, v252, v145, s[72:73]
	v_cmp_ne_u16_e64 s[72:73], 5, v149
	.loc	1 74 33                         ; fp8_utils_aot.py:74:33
	v_mfma_f32_32x32x8_f16 v[0:15], v[136:137], v[152:153], v[0:15]
	.loc	1 67 20                         ; fp8_utils_aot.py:67:20
	v_and_b32_e32 v152, 0x7f, v183
	v_cndmask_b32_e64 v147, v68, v147, s[70:71]
	v_cmp_ne_u16_e64 s[70:71], 7, v148
	v_cndmask_b32_e64 v145, v253, v145, s[72:73]
	v_cmp_ne_u16_e64 s[72:73], 6, v149
	v_lshlrev_b16_e32 v148, 7, v60
	v_and_b32_e32 v127, 0x3f80, v127
	v_cndmask_b32_e64 v145, v68, v145, s[72:73]
	v_cmp_ne_u16_e64 s[72:73], 7, v149
	v_and_b32_e32 v148, 0x3f80, v148
	v_and_b32_e32 v149, 0x7f, v60
	v_add_u16_e32 v127, 0x2000, v127
	v_cmp_ne_u16_e64 s[76:77], s33, v152
	v_add_u16_e32 v148, 0x2000, v148
	v_cmp_ne_u16_e64 s[74:75], s33, v149
	v_cndmask_b32_e64 v127, v244, v127, s[76:77]
	v_cmp_ne_u16_e64 s[76:77], 0, v152
	v_cndmask_b32_e64 v148, v244, v148, s[74:75]
	;; [unrolled: 2-line block ×13, first 2 shown]
	v_cmp_ne_u16_e64 s[76:77], 6, v152
	v_lshlrev_b16_e32 v126, 8, v183
	v_cndmask_b32_e64 v148, v253, v148, s[74:75]
	v_cmp_ne_u16_e64 s[74:75], 6, v149
	v_cndmask_b32_e64 v127, v68, v127, s[76:77]
	v_cmp_ne_u16_e64 s[76:77], 7, v152
	;; [unrolled: 2-line block ×3, first 2 shown]
	v_and_b32_e32 v126, 0xffff8000, v126
	v_cndmask_b32_e64 v127, v69, v127, s[76:77]
	v_lshlrev_b16_e32 v60, 8, v60
	v_lshlrev_b16_sdwa v144, v70, v183 dst_sel:DWORD dst_unused:UNUSED_PAD src0_sel:DWORD src1_sel:WORD_1
	v_or_b32_e32 v152, v127, v126
	v_and_b32_e32 v60, 0xffff8000, v60
	v_cndmask_b32_e64 v126, v69, v148, s[74:75]
	v_lshlrev_b16_sdwa v146, v70, v183 dst_sel:DWORD dst_unused:UNUSED_PAD src0_sel:DWORD src1_sel:BYTE_3
	v_or_b32_e32 v60, v126, v60
	v_and_b32_e32 v126, 0xffff8000, v144
	v_cndmask_b32_e64 v127, v69, v145, s[72:73]
	v_or_b32_e32 v148, v127, v126
	v_and_b32_e32 v126, 0xffff8000, v146
	v_cndmask_b32_e64 v127, v69, v147, s[70:71]
	v_or_b32_e32 v146, v127, v126
	.loc	1 74 33                         ; fp8_utils_aot.py:74:33
	v_perm_b32 v127, v58, v56, s13
	.loc	1 67 20                         ; fp8_utils_aot.py:67:20
	v_lshlrev_b16_sdwa v56, v71, v185 dst_sel:DWORD dst_unused:UNUSED_PAD src0_sel:DWORD src1_sel:BYTE_3
	.loc	1 74 33                         ; fp8_utils_aot.py:74:33
	v_mfma_f32_32x32x8_f16 v[0:15], v[138:139], v[154:155], v[0:15]
	v_perm_b32 v126, v52, v53, s13
	.loc	1 67 20                         ; fp8_utils_aot.py:67:20
	v_lshlrev_b16_sdwa v52, v71, v185 dst_sel:DWORD dst_unused:UNUSED_PAD src0_sel:DWORD src1_sel:WORD_1
	v_and_b32_sdwa v58, v185, s33 dst_sel:DWORD dst_unused:UNUSED_PAD src0_sel:BYTE_3 src1_sel:DWORD
	v_and_b32_e32 v56, 0x3f80, v56
	v_and_b32_sdwa v147, v185, s33 dst_sel:DWORD dst_unused:UNUSED_PAD src0_sel:WORD_1 src1_sel:DWORD
	v_add_u16_e32 v56, 0x2000, v56
	v_cmp_ne_u16_e64 s[70:71], s33, v58
	v_and_b32_e32 v52, 0x3f80, v52
	v_add_u16_e32 v52, 0x2000, v52
	v_cndmask_b32_e64 v56, v244, v56, s[70:71]
	v_cmp_ne_u16_e64 s[70:71], 0, v58
	v_cmp_ne_u16_e64 s[72:73], s33, v147
	.loc	1 74 33                         ; fp8_utils_aot.py:74:33
	v_mfma_f32_32x32x8_f16 v[0:15], v[150:151], v[156:157], v[0:15]
	.loc	1 67 20                         ; fp8_utils_aot.py:67:20
	v_cndmask_b32_e64 v56, 0, v56, s[70:71]
	v_cmp_ne_u16_e64 s[70:71], 1, v58
	v_cndmask_b32_e64 v52, v244, v52, s[72:73]
	v_cmp_ne_u16_e64 s[72:73], 0, v147
	;; [unrolled: 2-line block ×10, first 2 shown]
	.loc	1 74 33                         ; fp8_utils_aot.py:74:33
	v_perm_b32 v145, v51, v50, s13
	v_perm_b32 v144, v46, v49, s13
	.loc	1 67 20                         ; fp8_utils_aot.py:67:20
	v_lshrrev_b32_e32 v46, 8, v185
	v_lshlrev_b16_e32 v50, 7, v185
	v_cndmask_b32_e64 v56, v253, v56, s[70:71]
	v_cmp_ne_u16_e64 s[70:71], 6, v58
	v_cndmask_b32_e64 v52, v252, v52, s[72:73]
	v_cmp_ne_u16_e64 s[72:73], 5, v147
	v_and_b32_e32 v149, 0x7f, v185
	v_cndmask_b32_e64 v56, v68, v56, s[70:71]
	v_cmp_ne_u16_e64 s[70:71], 7, v58
	v_cndmask_b32_e64 v52, v253, v52, s[72:73]
	v_cmp_ne_u16_e64 s[72:73], 6, v147
	v_lshlrev_b16_e32 v58, 7, v46
	v_and_b32_e32 v50, 0x3f80, v50
	v_cndmask_b32_e64 v52, v68, v52, s[72:73]
	v_cmp_ne_u16_e64 s[72:73], 7, v147
	v_and_b32_e32 v58, 0x3f80, v58
	v_and_b32_e32 v147, 0x7f, v46
	v_add_u16_e32 v50, 0x2000, v50
	v_cmp_ne_u16_e64 s[76:77], s33, v149
	v_add_u16_e32 v58, 0x2000, v58
	v_cmp_ne_u16_e64 s[74:75], s33, v147
	v_cndmask_b32_e64 v50, v244, v50, s[76:77]
	v_cmp_ne_u16_e64 s[76:77], 0, v149
	v_cndmask_b32_e64 v58, v244, v58, s[74:75]
	;; [unrolled: 2-line block ×9, first 2 shown]
	v_cmp_ne_u16_e64 s[76:77], 4, v149
	.loc	1 74 33                         ; fp8_utils_aot.py:74:33
	v_mfma_f32_32x32x8_f16 v[0:15], v[140:141], v[160:161], v[0:15]
	.loc	1 67 20                         ; fp8_utils_aot.py:67:20
	v_cndmask_b32_e64 v58, v247, v58, s[74:75]
	v_cmp_ne_u16_e64 s[74:75], 4, v147
	v_cndmask_b32_e64 v50, v252, v50, s[76:77]
	v_cmp_ne_u16_e64 s[76:77], 5, v149
	;; [unrolled: 2-line block ×4, first 2 shown]
	v_lshlrev_b16_e32 v49, 8, v185
	v_cndmask_b32_e64 v58, v253, v58, s[74:75]
	v_cmp_ne_u16_e64 s[74:75], 6, v147
	v_cndmask_b32_e64 v50, v68, v50, s[76:77]
	v_cmp_ne_u16_e64 s[76:77], 7, v149
	;; [unrolled: 2-line block ×3, first 2 shown]
	v_and_b32_e32 v49, 0xffff8000, v49
	v_cndmask_b32_e64 v50, v69, v50, s[76:77]
	v_lshlrev_b16_e32 v46, 8, v46
	v_lshlrev_b16_sdwa v51, v70, v185 dst_sel:DWORD dst_unused:UNUSED_PAD src0_sel:DWORD src1_sel:WORD_1
	v_or_b32_e32 v49, v50, v49
	v_and_b32_e32 v46, 0xffff8000, v46
	v_cndmask_b32_e64 v50, v69, v58, s[74:75]
	v_lshlrev_b16_sdwa v53, v70, v185 dst_sel:DWORD dst_unused:UNUSED_PAD src0_sel:DWORD src1_sel:BYTE_3
	v_or_b32_e32 v46, v50, v46
	v_and_b32_e32 v50, 0xffff8000, v51
	v_cndmask_b32_e64 v51, v69, v52, s[72:73]
	v_or_b32_e32 v50, v51, v50
	v_and_b32_e32 v51, 0xffff8000, v53
	v_cndmask_b32_e64 v52, v69, v56, s[70:71]
	v_or_b32_e32 v51, v52, v51
	.loc	1 74 33                         ; fp8_utils_aot.py:74:33
	v_perm_b32 v149, v146, v148, s13
	v_perm_b32 v146, v46, v49, s13
	.loc	1 67 20                         ; fp8_utils_aot.py:67:20
	v_lshlrev_b16_sdwa v49, v71, v187 dst_sel:DWORD dst_unused:UNUSED_PAD src0_sel:DWORD src1_sel:BYTE_3
	.loc	1 74 33                         ; fp8_utils_aot.py:74:33
	v_mfma_f32_32x32x8_f16 v[0:15], v[142:143], v[162:163], v[0:15]
	v_perm_b32 v148, v60, v152, s13
	.loc	1 67 20                         ; fp8_utils_aot.py:67:20
	v_lshlrev_b16_sdwa v152, v71, v187 dst_sel:DWORD dst_unused:UNUSED_PAD src0_sel:DWORD src1_sel:WORD_1
	.loc	1 74 33                         ; fp8_utils_aot.py:74:33
	v_perm_b32 v147, v51, v50, s13
	.loc	1 67 20                         ; fp8_utils_aot.py:67:20
	v_and_b32_sdwa v50, v187, s33 dst_sel:DWORD dst_unused:UNUSED_PAD src0_sel:BYTE_3 src1_sel:DWORD
	v_and_b32_e32 v49, 0x3f80, v49
	v_and_b32_sdwa v51, v187, s33 dst_sel:DWORD dst_unused:UNUSED_PAD src0_sel:WORD_1 src1_sel:DWORD
	v_add_u16_e32 v49, 0x2000, v49
	v_cmp_ne_u16_e64 s[70:71], s33, v50
	v_and_b32_e32 v152, 0x3f80, v152
	v_add_u16_e32 v152, 0x2000, v152
	v_cndmask_b32_e64 v49, v244, v49, s[70:71]
	v_cmp_ne_u16_e64 s[70:71], 0, v50
	v_cmp_ne_u16_e64 s[72:73], s33, v51
	.loc	1 74 33                         ; fp8_utils_aot.py:74:33
	v_mfma_f32_32x32x8_f16 v[0:15], v[128:129], v[164:165], v[0:15]
	.loc	1 67 20                         ; fp8_utils_aot.py:67:20
	v_cndmask_b32_e64 v49, 0, v49, s[70:71]
	v_cmp_ne_u16_e64 s[70:71], 1, v50
	v_cndmask_b32_e64 v152, v244, v152, s[72:73]
	v_cmp_ne_u16_e64 s[72:73], 0, v51
	;; [unrolled: 2-line block ×10, first 2 shown]
	v_lshrrev_b32_e32 v52, 8, v187
	v_cndmask_b32_e64 v49, v253, v49, s[70:71]
	v_cmp_ne_u16_e64 s[70:71], 6, v50
	v_cndmask_b32_e64 v152, v252, v152, s[72:73]
	v_cmp_ne_u16_e64 s[72:73], 5, v51
	;; [unrolled: 2-line block ×3, first 2 shown]
	v_lshlrev_b16_e32 v50, 7, v52
	v_cndmask_b32_e64 v152, v253, v152, s[72:73]
	v_cmp_ne_u16_e64 s[72:73], 6, v51
	v_and_b32_e32 v50, 0x3f80, v50
	v_add_u16_e32 v50, 0x2000, v50
	v_cndmask_b32_e64 v152, v68, v152, s[72:73]
	v_cmp_ne_u16_e64 s[72:73], 7, v51
	v_and_b32_e32 v51, 0x7f, v52
	v_cmp_ne_u16_e64 s[74:75], s33, v51
	.loc	1 74 33                         ; fp8_utils_aot.py:74:33
	v_mfma_f32_32x32x8_f16 v[0:15], v[144:145], v[166:167], v[0:15]
	.loc	1 67 20                         ; fp8_utils_aot.py:67:20
	v_lshlrev_b16_e32 v56, 7, v187
	v_cndmask_b32_e64 v50, v244, v50, s[74:75]
	v_cmp_ne_u16_e64 s[74:75], 0, v51
	v_and_b32_e32 v153, 0x7f, v187
	v_cmp_ne_u16_e64 s[76:77], s33, v153
	v_cndmask_b32_e64 v50, 0, v50, s[74:75]
	v_cmp_ne_u16_e64 s[74:75], 1, v51
	.loc	1 74 33                         ; fp8_utils_aot.py:74:33
	v_mfma_f32_32x32x8_f16 v[0:15], v[126:127], v[170:171], v[0:15]
	.loc	1 67 20                         ; fp8_utils_aot.py:67:20
	v_lshlrev_b16_e32 v53, 8, v187
	v_cndmask_b32_e64 v50, v245, v50, s[74:75]
	v_cmp_ne_u16_e64 s[74:75], 2, v51
	v_lshlrev_b16_e32 v52, 8, v52
	v_lshlrev_b16_sdwa v60, v70, v187 dst_sel:DWORD dst_unused:UNUSED_PAD src0_sel:DWORD src1_sel:WORD_1
	v_cndmask_b32_e64 v50, v246, v50, s[74:75]
	v_cmp_ne_u16_e64 s[74:75], 3, v51
	v_and_b32_e32 v53, 0xffff8000, v53
	v_and_b32_e32 v52, 0xffff8000, v52
	v_cndmask_b32_e64 v50, v247, v50, s[74:75]
	v_cmp_ne_u16_e64 s[74:75], 4, v51
	.loc	1 66 20                         ; fp8_utils_aot.py:66:20
	v_lshlrev_b16_e32 v154, 8, v124
	v_lshlrev_b16_e32 v58, 7, v124
	.loc	1 67 20                         ; fp8_utils_aot.py:67:20
	v_cndmask_b32_e64 v50, v252, v50, s[74:75]
	v_cmp_ne_u16_e64 s[74:75], 5, v51
	.loc	1 66 20                         ; fp8_utils_aot.py:66:20
	v_and_b32_e32 v155, 0x7f, v124
	.loc	1 74 33                         ; fp8_utils_aot.py:74:33
	v_mfma_f32_32x32x8_f16 v[0:15], v[148:149], v[172:173], v[0:15]
	.loc	1 67 20                         ; fp8_utils_aot.py:67:20
	v_cndmask_b32_e64 v50, v253, v50, s[74:75]
	v_cmp_ne_u16_e64 s[74:75], 6, v51
	.loc	1 66 20                         ; fp8_utils_aot.py:66:20
	v_lshlrev_b16_sdwa v156, v70, v124 dst_sel:DWORD dst_unused:UNUSED_PAD src0_sel:DWORD src1_sel:WORD_1
	v_lshlrev_b16_sdwa v157, v71, v124 dst_sel:DWORD dst_unused:UNUSED_PAD src0_sel:DWORD src1_sel:WORD_1
	.loc	1 67 20                         ; fp8_utils_aot.py:67:20
	v_cndmask_b32_e64 v50, v68, v50, s[74:75]
	v_cmp_ne_u16_e64 s[74:75], 7, v51
	v_and_b32_e32 v51, 0x3f80, v56
	v_add_u16_e32 v51, 0x2000, v51
	v_cndmask_b32_e64 v51, v244, v51, s[76:77]
	v_cmp_ne_u16_e64 s[76:77], 0, v153
	v_cndmask_b32_e64 v50, v69, v50, s[74:75]
	v_or_b32_e32 v50, v50, v52
	v_cndmask_b32_e64 v51, 0, v51, s[76:77]
	v_cmp_ne_u16_e64 s[76:77], 1, v153
	v_and_b32_e32 v52, 0xffff8000, v60
	.loc	1 66 20                         ; fp8_utils_aot.py:66:20
	v_and_b32_sdwa v56, v124, s33 dst_sel:DWORD dst_unused:UNUSED_PAD src0_sel:WORD_1 src1_sel:DWORD
	.loc	1 67 20                         ; fp8_utils_aot.py:67:20
	v_cndmask_b32_e64 v51, v245, v51, s[76:77]
	v_cmp_ne_u16_e64 s[76:77], 2, v153
	.loc	1 66 20                         ; fp8_utils_aot.py:66:20
	v_lshlrev_b16_sdwa v160, v70, v124 dst_sel:DWORD dst_unused:UNUSED_PAD src0_sel:DWORD src1_sel:BYTE_3
	v_lshlrev_b16_sdwa v161, v71, v124 dst_sel:DWORD dst_unused:UNUSED_PAD src0_sel:DWORD src1_sel:BYTE_3
	.loc	1 67 20                         ; fp8_utils_aot.py:67:20
	v_cndmask_b32_e64 v51, v246, v51, s[76:77]
	v_cmp_ne_u16_e64 s[76:77], 3, v153
	.loc	1 66 20                         ; fp8_utils_aot.py:66:20
	v_and_b32_sdwa v60, v124, s33 dst_sel:DWORD dst_unused:UNUSED_PAD src0_sel:BYTE_3 src1_sel:DWORD
	v_and_b32_sdwa v124, v125, s33 dst_sel:DWORD dst_unused:UNUSED_PAD src0_sel:BYTE_3 src1_sel:DWORD
	.loc	1 67 20                         ; fp8_utils_aot.py:67:20
	v_cndmask_b32_e64 v51, v247, v51, s[76:77]
	v_cmp_ne_u16_e64 s[76:77], 4, v153
	v_cndmask_b32_e64 v49, v69, v49, s[70:71]
	.loc	1 66 20                         ; fp8_utils_aot.py:66:20
	v_cmp_ne_u16_e64 s[70:71], s33, v124
	.loc	1 67 20                         ; fp8_utils_aot.py:67:20
	v_cndmask_b32_e64 v51, v252, v51, s[76:77]
	v_cmp_ne_u16_e64 s[76:77], 5, v153
	v_lshlrev_b16_sdwa v46, v70, v187 dst_sel:DWORD dst_unused:UNUSED_PAD src0_sel:DWORD src1_sel:BYTE_3
	.loc	1 74 33                         ; fp8_utils_aot.py:74:33
	v_mfma_f32_32x32x8_f16 v[0:15], v[146:147], v[176:177], v[0:15]
	.loc	1 67 20                         ; fp8_utils_aot.py:67:20
	v_cndmask_b32_e64 v51, v253, v51, s[76:77]
	v_cmp_ne_u16_e64 s[76:77], 6, v153
	.loc	1 66 20                         ; fp8_utils_aot.py:66:20
	v_lshlrev_b16_e32 v177, 8, v122
	v_lshlrev_b16_sdwa v179, v70, v122 dst_sel:DWORD dst_unused:UNUSED_PAD src0_sel:DWORD src1_sel:WORD_1
	.loc	1 67 20                         ; fp8_utils_aot.py:67:20
	v_cndmask_b32_e64 v51, v68, v51, s[76:77]
	v_cmp_ne_u16_e64 s[76:77], 7, v153
	.loc	1 66 20                         ; fp8_utils_aot.py:66:20
	v_lshlrev_b16_sdwa v181, v70, v122 dst_sel:DWORD dst_unused:UNUSED_PAD src0_sel:DWORD src1_sel:BYTE_3
	v_lshlrev_b16_sdwa v122, v71, v123 dst_sel:DWORD dst_unused:UNUSED_PAD src0_sel:DWORD src1_sel:WORD_1
	.loc	1 67 20                         ; fp8_utils_aot.py:67:20
	v_cndmask_b32_e64 v51, v69, v51, s[76:77]
	v_or_b32_e32 v51, v51, v53
	v_cndmask_b32_e64 v53, v69, v152, s[72:73]
	v_or_b32_e32 v52, v53, v52
	.loc	1 66 20                         ; fp8_utils_aot.py:66:20
	v_lshlrev_b16_sdwa v53, v71, v125 dst_sel:DWORD dst_unused:UNUSED_PAD src0_sel:DWORD src1_sel:BYTE_3
	v_and_b32_e32 v53, 0x3f80, v53
	v_add_u16_e32 v53, 0x2000, v53
	v_cndmask_b32_e64 v53, v244, v53, s[70:71]
	v_cmp_ne_u16_e64 s[70:71], 0, v124
	.loc	1 67 20                         ; fp8_utils_aot.py:67:20
	v_and_b32_e32 v46, 0xffff8000, v46
	.loc	1 66 20                         ; fp8_utils_aot.py:66:20
	v_and_b32_e32 v122, 0x3f80, v122
	v_cndmask_b32_e64 v53, 0, v53, s[70:71]
	v_cmp_ne_u16_e64 s[70:71], 1, v124
	.loc	1 67 20                         ; fp8_utils_aot.py:67:20
	v_or_b32_e32 v49, v49, v46
	.loc	1 74 33                         ; fp8_utils_aot.py:74:33
	v_perm_b32 v152, v50, v51, s13
	.loc	1 66 20                         ; fp8_utils_aot.py:66:20
	v_cndmask_b32_e64 v53, v245, v53, s[70:71]
	v_cmp_ne_u16_e64 s[70:71], 2, v124
	v_lshlrev_b16_sdwa v51, v71, v125 dst_sel:DWORD dst_unused:UNUSED_PAD src0_sel:DWORD src1_sel:WORD_1
	v_add_u16_e32 v122, 0x2000, v122
	v_cndmask_b32_e64 v53, v246, v53, s[70:71]
	v_cmp_ne_u16_e64 s[70:71], 3, v124
	.loc	1 74 33                         ; fp8_utils_aot.py:74:33
	v_perm_b32 v153, v49, v52, s13
	.loc	1 66 20                         ; fp8_utils_aot.py:66:20
	v_and_b32_sdwa v52, v125, s33 dst_sel:DWORD dst_unused:UNUSED_PAD src0_sel:WORD_1 src1_sel:DWORD
	v_cndmask_b32_e64 v53, v247, v53, s[70:71]
	v_cmp_ne_u16_e64 s[70:71], 4, v124
	v_and_b32_e32 v51, 0x3f80, v51
	v_add_u16_e32 v51, 0x2000, v51
	v_cndmask_b32_e64 v53, v252, v53, s[70:71]
	v_cmp_ne_u16_e64 s[70:71], 5, v124
	v_cmp_ne_u16_e64 s[72:73], s33, v52
	v_lshrrev_b32_e32 v171, 8, v123
	v_cndmask_b32_e64 v53, v253, v53, s[70:71]
	v_cmp_ne_u16_e64 s[70:71], 6, v124
	v_cndmask_b32_e64 v51, v244, v51, s[72:73]
	v_cmp_ne_u16_e64 s[72:73], 0, v52
	;; [unrolled: 2-line block ×3, first 2 shown]
	v_and_b32_sdwa v124, v123, s33 dst_sel:DWORD dst_unused:UNUSED_PAD src0_sel:WORD_1 src1_sel:DWORD
	v_cmp_ne_u16_e64 s[80:81], s33, v124
	v_cndmask_b32_e64 v51, 0, v51, s[72:73]
	v_cmp_ne_u16_e64 s[72:73], 1, v52
	v_cndmask_b32_e64 v122, v244, v122, s[80:81]
	;; [unrolled: 2-line block ×12, first 2 shown]
	v_cmp_ne_u16_e64 s[80:81], 5, v124
	v_cmp_ne_u16_e64 s[82:83], s33, v56
	v_cndmask_b32_e64 v172, v68, v51, s[72:73]
	v_cndmask_b32_e64 v122, v253, v122, s[80:81]
	v_cmp_ne_u16_e64 s[80:81], 6, v124
	v_lshlrev_b16_e32 v51, 7, v171
	v_cmp_ne_u16_e64 s[72:73], 7, v52
	v_cndmask_b32_e64 v185, v68, v122, s[80:81]
	v_and_b32_e32 v122, 0x3f80, v157
	v_add_u16_e32 v122, 0x2000, v122
	v_cndmask_b32_e64 v122, v244, v122, s[82:83]
	v_cmp_ne_u16_e64 s[82:83], 0, v56
	v_and_b32_e32 v51, 0x3f80, v51
	v_and_b32_e32 v52, 0x7f, v171
	v_cndmask_b32_e64 v122, 0, v122, s[82:83]
	v_cmp_ne_u16_e64 s[82:83], 1, v56
	v_add_u16_e32 v51, 0x2000, v51
	v_cmp_ne_u16_e64 s[74:75], s33, v52
	v_cndmask_b32_e64 v122, v245, v122, s[82:83]
	v_cmp_ne_u16_e64 s[82:83], 2, v56
	v_cndmask_b32_e64 v51, v244, v51, s[74:75]
	;; [unrolled: 2-line block ×13, first 2 shown]
	.loc	1 74 33                         ; fp8_utils_aot.py:74:33
	v_and_b32_e32 v122, 0xffff8000, v156
	.loc	1 66 20                         ; fp8_utils_aot.py:66:20
	v_cndmask_b32_e64 v51, v253, v51, s[74:75]
	v_cmp_ne_u16_e64 s[74:75], 6, v52
	.loc	1 74 33                         ; fp8_utils_aot.py:74:33
	v_or_b32_e32 v56, v56, v122
	.loc	1 66 20                         ; fp8_utils_aot.py:66:20
	v_and_b32_e32 v122, 0x3f80, v161
	v_cndmask_b32_e64 v173, v68, v51, s[74:75]
	v_lshlrev_b16_e32 v51, 7, v123
	v_add_u16_e32 v122, 0x2000, v122
	v_cmp_ne_u16_e64 s[82:83], s33, v60
	v_cmp_ne_u16_e64 s[74:75], 7, v52
	v_and_b32_e32 v51, 0x3f80, v51
	v_and_b32_e32 v52, 0x7f, v123
	v_cndmask_b32_e64 v122, v244, v122, s[82:83]
	v_cmp_ne_u16_e64 s[82:83], 0, v60
	v_add_u16_e32 v51, 0x2000, v51
	v_cmp_ne_u16_e64 s[76:77], s33, v52
	v_cndmask_b32_e64 v122, 0, v122, s[82:83]
	v_cmp_ne_u16_e64 s[82:83], 1, v60
	v_cndmask_b32_e64 v51, v244, v51, s[76:77]
	;; [unrolled: 2-line block ×9, first 2 shown]
	v_cmp_ne_u16_e64 s[82:83], 5, v60
	.loc	1 74 33                         ; fp8_utils_aot.py:74:33
	v_mfma_f32_32x32x8_f16 v[16:31], v[134:135], v[130:131], v[16:31]
	.loc	1 66 20                         ; fp8_utils_aot.py:66:20
	v_cndmask_b32_e64 v51, v247, v51, s[76:77]
	v_cmp_ne_u16_e64 s[76:77], 4, v52
	v_cndmask_b32_e64 v122, v253, v122, s[82:83]
	v_cmp_ne_u16_e64 s[82:83], 6, v60
	;; [unrolled: 2-line block ×4, first 2 shown]
	v_and_b32_e32 v58, 0x3f80, v58
	v_lshlrev_b16_e32 v46, 8, v125
	v_lshlrev_b16_sdwa v49, v70, v125 dst_sel:DWORD dst_unused:UNUSED_PAD src0_sel:DWORD src1_sel:WORD_1
	v_lshlrev_b16_sdwa v50, v70, v125 dst_sel:DWORD dst_unused:UNUSED_PAD src0_sel:DWORD src1_sel:BYTE_3
	v_cndmask_b32_e64 v51, v253, v51, s[76:77]
	v_cmp_ne_u16_e64 s[76:77], 6, v52
	v_lshlrev_b16_sdwa v125, v71, v123 dst_sel:DWORD dst_unused:UNUSED_PAD src0_sel:DWORD src1_sel:BYTE_3
	v_cndmask_b32_e64 v60, v69, v122, s[82:83]
	v_add_u16_e32 v58, 0x2000, v58
	v_cmp_ne_u16_e64 s[82:83], s33, v155
	v_cndmask_b32_e64 v176, v68, v51, s[76:77]
	v_cmp_ne_u16_e64 s[76:77], 7, v52
	v_lshlrev_b16_e32 v52, 8, v123
	v_lshlrev_b16_sdwa v51, v70, v123 dst_sel:DWORD dst_unused:UNUSED_PAD src0_sel:DWORD src1_sel:WORD_1
	v_lshlrev_b16_sdwa v53, v70, v123 dst_sel:DWORD dst_unused:UNUSED_PAD src0_sel:DWORD src1_sel:BYTE_3
	v_and_b32_sdwa v123, v123, s33 dst_sel:DWORD dst_unused:UNUSED_PAD src0_sel:BYTE_3 src1_sel:DWORD
	v_and_b32_e32 v125, 0x3f80, v125
	v_cndmask_b32_e64 v58, v244, v58, s[82:83]
	v_cmp_ne_u16_e64 s[82:83], 0, v155
	v_add_u16_e32 v125, 0x2000, v125
	v_cmp_ne_u16_e64 s[78:79], s33, v123
	v_cndmask_b32_e64 v58, 0, v58, s[82:83]
	v_cmp_ne_u16_e64 s[82:83], 1, v155
	v_cndmask_b32_e64 v125, v244, v125, s[78:79]
	;; [unrolled: 2-line block ×7, first 2 shown]
	v_cmp_ne_u16_e64 s[82:83], 4, v155
	.loc	1 74 33                         ; fp8_utils_aot.py:74:33
	v_mfma_f32_32x32x8_f16 v[16:31], v[136:137], v[132:133], v[16:31]
	.loc	1 66 20                         ; fp8_utils_aot.py:66:20
	v_cndmask_b32_e64 v125, v246, v125, s[78:79]
	v_cmp_ne_u16_e64 s[78:79], 3, v123
	v_cndmask_b32_e64 v58, v252, v58, s[82:83]
	v_cmp_ne_u16_e64 s[82:83], 5, v155
	;; [unrolled: 2-line block ×5, first 2 shown]
	.loc	1 74 33                         ; fp8_utils_aot.py:74:33
	v_and_b32_e32 v122, 0xffff8000, v160
	.loc	1 66 20                         ; fp8_utils_aot.py:66:20
	v_cndmask_b32_e64 v58, v68, v58, s[82:83]
	v_cmp_ne_u16_e64 s[82:83], 7, v155
	v_cndmask_b32_e64 v125, v253, v125, s[78:79]
	v_cmp_ne_u16_e64 s[78:79], 6, v123
	.loc	1 74 33                         ; fp8_utils_aot.py:74:33
	v_or_b32_e32 v60, v60, v122
	.loc	1 66 20                         ; fp8_utils_aot.py:66:20
	v_cndmask_b32_e64 v58, v69, v58, s[82:83]
	.loc	1 74 33                         ; fp8_utils_aot.py:74:33
	v_and_b32_e32 v122, 0xffff8000, v154
	.loc	1 66 20                         ; fp8_utils_aot.py:66:20
	v_cndmask_b32_e64 v183, v68, v125, s[78:79]
	v_cmp_ne_u16_e64 s[78:79], 7, v123
	.loc	1 74 33                         ; fp8_utils_aot.py:74:33
	v_or_b32_e32 v58, v58, v122
	v_accvgpr_read_b32 v123, a19
	.loc	1 66 20                         ; fp8_utils_aot.py:66:20
	v_cmp_ne_u16_e64 s[80:81], 7, v124
	v_accvgpr_read_b32 v122, a18
	v_accvgpr_read_b32 v125, a21
	.loc	1 74 33                         ; fp8_utils_aot.py:74:33
	v_perm_b32 v154, v35, v58, s13
	v_perm_b32 v155, v60, v56, s13
	.loc	1 71 32                         ; fp8_utils_aot.py:71:32
	v_lshl_add_u64 v[122:123], v[122:123], 0, s[28:29]
	v_accvgpr_read_b32 v124, a20
	v_lshl_add_u64 v[156:157], v[124:125], 0, s[28:29]
	.loc	1 71 22 is_stmt 0               ; fp8_utils_aot.py:71:22
	global_load_dword v124, v[122:123], off
	s_nop 0
	global_load_dword v122, v[156:157], off
	.loc	1 74 33 is_stmt 1               ; fp8_utils_aot.py:74:33
	v_mfma_f32_32x32x8_f16 v[16:31], v[138:139], v[154:155], v[16:31]
	.loc	1 66 20                         ; fp8_utils_aot.py:66:20
	v_cndmask_b32_e64 v165, v69, v38, s[34:35]
	v_cndmask_b32_e64 v167, v69, v39, s[26:27]
	;; [unrolled: 1-line block ×7, first 2 shown]
	.loc	1 74 33                         ; fp8_utils_aot.py:74:33
	v_mfma_f32_32x32x8_f16 v[0:15], v[152:153], v[174:175], v[0:15]
	.loc	1 66 20                         ; fp8_utils_aot.py:66:20
	v_lshlrev_b16_e32 v174, 8, v36
	v_cndmask_b32_e64 v175, v69, v40, s[30:31]
	v_cndmask_b32_e64 v90, v69, v47, s[56:57]
	;; [unrolled: 1-line block ×4, first 2 shown]
	v_lshlrev_b16_e32 v57, 8, v62
	v_cndmask_b32_e64 v47, v69, v63, s[54:55]
	v_cndmask_b32_e64 v48, v69, v64, s[58:59]
	.loc	1 74 33                         ; fp8_utils_aot.py:74:33
	v_and_b32_e32 v62, 0xffff8000, v174
	v_and_b32_e32 v100, 0xffff8000, v177
	;; [unrolled: 1-line block ×4, first 2 shown]
	.loc	1 66 20                         ; fp8_utils_aot.py:66:20
	v_lshlrev_b16_e32 v157, 8, v92
	v_cndmask_b32_e64 v92, v69, v99, s[24:25]
	.loc	1 74 33                         ; fp8_utils_aot.py:74:33
	v_or_b32_e32 v63, v187, v63
	v_or_b32_e32 v99, v175, v64
	;; [unrolled: 1-line block ×4, first 2 shown]
	v_perm_b32 v62, v62, v64, s13
	v_perm_b32 v63, v99, v63, s13
	.loc	1 66 20                         ; fp8_utils_aot.py:66:20
	v_lshlrev_b16_e32 v166, 8, v42
	v_cndmask_b32_e64 v161, v69, v87, s[38:39]
	.loc	1 74 33                         ; fp8_utils_aot.py:74:33
	v_mfma_f32_32x32x8_f16 v[16:31], v[150:151], v[62:63], v[16:31]
	.loc	1 66 20                         ; fp8_utils_aot.py:66:20
	v_cndmask_b32_e64 v162, v69, v89, s[94:95]
	v_lshlrev_b16_e32 v60, 8, v54
	v_cndmask_b32_e64 v54, v69, v65, s[62:63]
	.loc	1 74 33                         ; fp8_utils_aot.py:74:33
	v_and_b32_e32 v64, 0xffff8000, v166
	v_and_b32_e32 v65, 0xffff8000, v73
	;; [unrolled: 1-line block ×3, first 2 shown]
	v_or_b32_e32 v72, v164, v72
	v_or_b32_e32 v73, v163, v73
	;; [unrolled: 1-line block ×4, first 2 shown]
	v_perm_b32 v64, v64, v65, s13
	v_perm_b32 v65, v73, v72, s13
	.loc	1 66 20                         ; fp8_utils_aot.py:66:20
	v_cndmask_b32_e64 v123, v69, v93, s[18:19]
	v_cndmask_b32_e64 v156, v69, v96, s[10:11]
	.loc	1 74 33                         ; fp8_utils_aot.py:74:33
	v_mfma_f32_32x32x8_f16 v[16:31], v[140:141], v[64:65], v[16:31]
	.loc	1 66 20                         ; fp8_utils_aot.py:66:20
	v_cndmask_b32_e64 v160, v69, v98, s[92:93]
	.loc	1 74 33                         ; fp8_utils_aot.py:74:33
	v_and_b32_e32 v72, 0xffff8000, v157
	v_and_b32_e32 v73, 0xffff8000, v74
	;; [unrolled: 1-line block ×4, first 2 shown]
	v_or_b32_e32 v75, v160, v75
	v_or_b32_e32 v74, v156, v74
	v_or_b32_e32 v73, v125, v73
	v_or_b32_e32 v72, v123, v72
	v_perm_b32 v72, v72, v73, s13
	v_perm_b32 v73, v74, v75, s13
	.loc	1 66 20                         ; fp8_utils_aot.py:66:20
	v_lshlrev_b16_e32 v98, 8, v97
	v_cndmask_b32_e64 v96, v69, v101, s[42:43]
	.loc	1 74 33                         ; fp8_utils_aot.py:74:33
	v_mfma_f32_32x32x8_f16 v[16:31], v[142:143], v[72:73], v[16:31]
	.loc	1 66 20                         ; fp8_utils_aot.py:66:20
	v_cndmask_b32_e64 v97, v69, v102, s[44:45]
	.loc	1 74 33                         ; fp8_utils_aot.py:74:33
	v_and_b32_e32 v74, 0xffff8000, v98
	v_and_b32_e32 v75, 0xffff8000, v80
	v_and_b32_e32 v78, 0xffff8000, v86
	v_and_b32_e32 v79, 0xffff8000, v81
	v_or_b32_e32 v63, v97, v79
	v_or_b32_e32 v78, v96, v78
	;; [unrolled: 1-line block ×4, first 2 shown]
	v_perm_b32 v62, v74, v62, s13
	v_perm_b32 v63, v78, v63, s13
	.loc	1 66 20                         ; fp8_utils_aot.py:66:20
	v_lshlrev_b16_e32 v93, 8, v104
	v_cndmask_b32_e32 v87, v69, v44, vcc
	.loc	1 74 33                         ; fp8_utils_aot.py:74:33
	v_mfma_f32_32x32x8_f16 v[16:31], v[128:129], v[62:63], v[16:31]
	.loc	1 66 20                         ; fp8_utils_aot.py:66:20
	v_cndmask_b32_e64 v89, v69, v45, s[8:9]
	.loc	1 74 33                         ; fp8_utils_aot.py:74:33
	v_and_b32_e32 v74, 0xffff8000, v93
	v_or_b32_e32 v33, v91, v33
	v_or_b32_e32 v34, v90, v34
	;; [unrolled: 1-line block ×4, first 2 shown]
	v_perm_b32 v32, v64, v32, s13
	v_perm_b32 v33, v34, v33, s13
	.loc	1 66 20                         ; fp8_utils_aot.py:66:20
	v_cndmask_b32_e64 v56, v69, v55, s[46:47]
	v_cndmask_b32_e64 v59, v69, v59, s[50:51]
	.loc	1 74 33                         ; fp8_utils_aot.py:74:33
	v_mfma_f32_32x32x8_f16 v[16:31], v[144:145], v[32:33], v[16:31]
	.loc	1 66 20                         ; fp8_utils_aot.py:66:20
	v_cndmask_b32_e64 v61, v69, v61, s[52:53]
	.loc	1 74 33                         ; fp8_utils_aot.py:74:33
	v_and_b32_e32 v34, 0xffff8000, v60
	v_and_b32_e32 v43, 0xffff8000, v43
	v_and_b32_e32 v60, 0xffff8000, v95
	v_and_b32_e32 v64, 0xffff8000, v88
	v_or_b32_e32 v61, v61, v64
	v_or_b32_e32 v59, v59, v60
	;; [unrolled: 1-line block ×4, first 2 shown]
	v_perm_b32 v58, v34, v43, s13
	v_perm_b32 v59, v59, v61, s13
	.loc	1 66 20                         ; fp8_utils_aot.py:66:20
	v_cndmask_b32_e64 v55, v69, v180, s[64:65]
	.loc	1 74 33                         ; fp8_utils_aot.py:74:33
	v_and_b32_e32 v34, 0xffff8000, v57
	v_mfma_f32_32x32x8_f16 v[16:31], v[126:127], v[58:59], v[16:31]
	v_and_b32_e32 v43, 0xffff8000, v103
	v_and_b32_e32 v32, 0xffff8000, v178
	;; [unrolled: 1-line block ×3, first 2 shown]
	v_or_b32_e32 v33, v55, v33
	v_or_b32_e32 v54, v54, v32
	;; [unrolled: 1-line block ×4, first 2 shown]
	v_perm_b32 v32, v34, v32, s13
	v_perm_b32 v33, v54, v33, s13
	.loc	1 66 20                         ; fp8_utils_aot.py:66:20
	v_lshlrev_b16_e32 v44, 8, v182
	v_cndmask_b32_e64 v39, v69, v184, s[66:67]
	.loc	1 74 33                         ; fp8_utils_aot.py:74:33
	v_mfma_f32_32x32x8_f16 v[16:31], v[148:149], v[32:33], v[16:31]
	.loc	1 66 20                         ; fp8_utils_aot.py:66:20
	v_cndmask_b32_e64 v41, v69, v186, s[68:69]
	v_cndmask_b32_e64 v42, v69, v170, s[70:71]
	;; [unrolled: 1-line block ×3, first 2 shown]
	.loc	1 74 33                         ; fp8_utils_aot.py:74:33
	v_and_b32_e32 v34, 0xffff8000, v44
	v_and_b32_e32 v43, 0xffff8000, v46
	;; [unrolled: 1-line block ×4, first 2 shown]
	v_or_b32_e32 v45, v45, v46
	v_or_b32_e32 v42, v42, v44
	;; [unrolled: 1-line block ×4, first 2 shown]
	v_perm_b32 v32, v33, v32, s13
	v_perm_b32 v33, v42, v45, s13
	.loc	1 66 20                         ; fp8_utils_aot.py:66:20
	v_lshlrev_b16_e32 v40, 8, v171
	v_cndmask_b32_e64 v35, v69, v173, s[74:75]
	.loc	1 74 33                         ; fp8_utils_aot.py:74:33
	v_mfma_f32_32x32x8_f16 v[16:31], v[146:147], v[32:33], v[16:31]
	.loc	1 66 20                         ; fp8_utils_aot.py:66:20
	v_cndmask_b32_e64 v36, v69, v176, s[76:77]
	v_cndmask_b32_e64 v37, v69, v183, s[78:79]
	;; [unrolled: 1-line block ×3, first 2 shown]
	.loc	1 74 33                         ; fp8_utils_aot.py:74:33
	v_and_b32_e32 v34, 0xffff8000, v40
	v_and_b32_e32 v39, 0xffff8000, v52
	;; [unrolled: 1-line block ×4, first 2 shown]
	v_or_b32_e32 v33, v38, v32
	v_or_b32_e32 v37, v37, v40
	;; [unrolled: 1-line block ×4, first 2 shown]
	v_perm_b32 v32, v34, v32, s13
	v_perm_b32 v33, v37, v33, s13
	.loc	1 65 22                         ; fp8_utils_aot.py:65:22
	v_readlane_b32 s8, v254, 33
	s_add_u32 s4, s4, s8
	.loc	1 74 33                         ; fp8_utils_aot.py:74:33
	v_mfma_f32_32x32x8_f16 v[16:31], v[152:153], v[32:33], v[16:31]
	.loc	1 65 22                         ; fp8_utils_aot.py:65:22
	v_readlane_b32 s8, v254, 34
	s_addc_u32 s5, s5, s8
	v_readlane_b32 s8, v254, 31
	s_add_u32 s2, s2, s8
	v_readlane_b32 s8, v254, 32
	.loc	1 74 38                         ; fp8_utils_aot.py:74:38
	s_waitcnt vmcnt(1)
	v_pk_mul_f32 v[0:1], v[124:125], v[0:1] op_sel_hi:[0,1]
	v_pk_mul_f32 v[2:3], v[124:125], v[2:3] op_sel_hi:[0,1]
	v_pk_mul_f32 v[4:5], v[124:125], v[4:5] op_sel_hi:[0,1]
	v_pk_mul_f32 v[6:7], v[124:125], v[6:7] op_sel_hi:[0,1]
	v_pk_mul_f32 v[8:9], v[124:125], v[8:9] op_sel_hi:[0,1]
	v_pk_mul_f32 v[10:11], v[124:125], v[10:11] op_sel_hi:[0,1]
	v_pk_mul_f32 v[12:13], v[124:125], v[12:13] op_sel_hi:[0,1]
	v_pk_mul_f32 v[14:15], v[124:125], v[14:15] op_sel_hi:[0,1]
	s_waitcnt vmcnt(0)
	v_pk_mul_f32 v[16:17], v[122:123], v[16:17] op_sel_hi:[0,1]
	v_pk_mul_f32 v[18:19], v[122:123], v[18:19] op_sel_hi:[0,1]
	;; [unrolled: 1-line block ×8, first 2 shown]
	.loc	1 65 22                         ; fp8_utils_aot.py:65:22
	s_addc_u32 s3, s3, s8
	s_add_i32 s6, s6, -1
	s_addk_i32 s98, 0x80
	s_addk_i32 s14, 0xff80
	.loc	1 74 23                         ; fp8_utils_aot.py:74:23
	v_pk_fma_f32 v[84:85], v[108:109], v[0:1], v[84:85]
	v_pk_fma_f32 v[82:83], v[110:111], v[2:3], v[82:83]
	;; [unrolled: 1-line block ×15, first 2 shown]
	.loc	1 65 22                         ; fp8_utils_aot.py:65:22
	s_cmp_lg_u32 s6, 0
	.loc	1 74 23                         ; fp8_utils_aot.py:74:23
	v_pk_fma_f32 v[196:197], v[106:107], v[30:31], v[196:197]
	.loc	1 65 22                         ; fp8_utils_aot.py:65:22
	s_cbranch_scc0 .LBB0_257
.LBB0_4:                                ; =>This Inner Loop Header: Depth=1
	.loc	1 66 51                         ; fp8_utils_aot.py:66:51
	v_cmp_gt_i32_e32 vcc, s14, v189
	v_mov_b32_e32 v0, 0
	.loc	1 66 20 is_stmt 0               ; fp8_utils_aot.py:66:20
	s_and_saveexec_b64 s[8:9], vcc
	s_cbranch_execz .LBB0_6
; %bb.5:                                ;   in Loop: Header=BB0_4 Depth=1
	.loc	1 0 20                          ; fp8_utils_aot.py:0:20
	v_accvgpr_read_b32 v0, a242
	v_accvgpr_read_b32 v1, a243
	.loc	1 66 59                         ; fp8_utils_aot.py:66:59
	v_lshl_add_u64 v[0:1], s[2:3], 0, v[0:1]
	.loc	1 66 20                         ; fp8_utils_aot.py:66:20
	global_load_ubyte v0, v[0:1], off
.LBB0_6:                                ;   in Loop: Header=BB0_4 Depth=1
	.loc	1 0 20                          ; fp8_utils_aot.py:0:20
	s_or_b64 exec, exec, s[8:9]
	v_mov_b32_e32 v1, 0
	v_mov_b32_e32 v2, 0
	.loc	1 66 20                         ; fp8_utils_aot.py:66:20
	s_and_saveexec_b64 s[8:9], vcc
	s_cbranch_execz .LBB0_8
; %bb.7:                                ;   in Loop: Header=BB0_4 Depth=1
	.loc	1 0 20                          ; fp8_utils_aot.py:0:20
	v_accvgpr_read_b32 v2, a240
	v_accvgpr_read_b32 v3, a241
	.loc	1 66 59                         ; fp8_utils_aot.py:66:59
	v_lshl_add_u64 v[2:3], s[2:3], 0, v[2:3]
	.loc	1 66 20                         ; fp8_utils_aot.py:66:20
	global_load_ubyte v2, v[2:3], off
.LBB0_8:                                ;   in Loop: Header=BB0_4 Depth=1
	.loc	1 0 20                          ; fp8_utils_aot.py:0:20
	s_or_b64 exec, exec, s[8:9]
	.loc	1 66 20                         ; fp8_utils_aot.py:66:20
	s_and_saveexec_b64 s[8:9], vcc
	s_cbranch_execz .LBB0_10
; %bb.9:                                ;   in Loop: Header=BB0_4 Depth=1
	.loc	1 0 20                          ; fp8_utils_aot.py:0:20
	v_accvgpr_read_b32 v4, a238
	v_accvgpr_read_b32 v5, a239
	.loc	1 66 59                         ; fp8_utils_aot.py:66:59
	v_lshl_add_u64 v[4:5], s[2:3], 0, v[4:5]
	.loc	1 66 20                         ; fp8_utils_aot.py:66:20
	global_load_ubyte v1, v[4:5], off
.LBB0_10:                               ;   in Loop: Header=BB0_4 Depth=1
	.loc	1 0 20                          ; fp8_utils_aot.py:0:20
	s_or_b64 exec, exec, s[8:9]
	v_mov_b32_e32 v3, 0
	v_mov_b32_e32 v4, 0
	.loc	1 66 20                         ; fp8_utils_aot.py:66:20
	s_and_saveexec_b64 s[8:9], vcc
	s_cbranch_execz .LBB0_12
; %bb.11:                               ;   in Loop: Header=BB0_4 Depth=1
	.loc	1 0 20                          ; fp8_utils_aot.py:0:20
	v_accvgpr_read_b32 v4, a236
	v_accvgpr_read_b32 v5, a237
	.loc	1 66 59                         ; fp8_utils_aot.py:66:59
	v_lshl_add_u64 v[4:5], s[2:3], 0, v[4:5]
	.loc	1 66 20                         ; fp8_utils_aot.py:66:20
	global_load_ubyte v4, v[4:5], off
.LBB0_12:                               ;   in Loop: Header=BB0_4 Depth=1
	.loc	1 0 20                          ; fp8_utils_aot.py:0:20
	s_or_b64 exec, exec, s[8:9]
	.loc	1 66 20                         ; fp8_utils_aot.py:66:20
	s_and_saveexec_b64 s[8:9], vcc
	s_cbranch_execz .LBB0_14
; %bb.13:                               ;   in Loop: Header=BB0_4 Depth=1
	.loc	1 0 20                          ; fp8_utils_aot.py:0:20
	v_accvgpr_read_b32 v6, a234
	v_accvgpr_read_b32 v7, a235
	.loc	1 66 59                         ; fp8_utils_aot.py:66:59
	v_lshl_add_u64 v[6:7], s[2:3], 0, v[6:7]
	.loc	1 66 20                         ; fp8_utils_aot.py:66:20
	global_load_ubyte v3, v[6:7], off
.LBB0_14:                               ;   in Loop: Header=BB0_4 Depth=1
	.loc	1 0 20                          ; fp8_utils_aot.py:0:20
	s_or_b64 exec, exec, s[8:9]
	v_mov_b32_e32 v5, 0
	v_mov_b32_e32 v6, 0
	.loc	1 66 20                         ; fp8_utils_aot.py:66:20
	s_and_saveexec_b64 s[8:9], vcc
	s_cbranch_execz .LBB0_16
; %bb.15:                               ;   in Loop: Header=BB0_4 Depth=1
	.loc	1 0 20                          ; fp8_utils_aot.py:0:20
	v_accvgpr_read_b32 v6, a232
	v_accvgpr_read_b32 v7, a233
	.loc	1 66 59                         ; fp8_utils_aot.py:66:59
	v_lshl_add_u64 v[6:7], s[2:3], 0, v[6:7]
	.loc	1 66 20                         ; fp8_utils_aot.py:66:20
	global_load_ubyte v6, v[6:7], off
.LBB0_16:                               ;   in Loop: Header=BB0_4 Depth=1
	.loc	1 0 20                          ; fp8_utils_aot.py:0:20
	s_or_b64 exec, exec, s[8:9]
	.loc	1 66 20                         ; fp8_utils_aot.py:66:20
	s_and_saveexec_b64 s[8:9], vcc
	s_cbranch_execz .LBB0_18
; %bb.17:                               ;   in Loop: Header=BB0_4 Depth=1
	.loc	1 0 20                          ; fp8_utils_aot.py:0:20
	v_accvgpr_read_b32 v8, a230
	v_accvgpr_read_b32 v9, a231
	.loc	1 66 59                         ; fp8_utils_aot.py:66:59
	v_lshl_add_u64 v[8:9], s[2:3], 0, v[8:9]
	.loc	1 66 20                         ; fp8_utils_aot.py:66:20
	global_load_ubyte v5, v[8:9], off
.LBB0_18:                               ;   in Loop: Header=BB0_4 Depth=1
	.loc	1 0 20                          ; fp8_utils_aot.py:0:20
	s_or_b64 exec, exec, s[8:9]
	v_mov_b32_e32 v8, 0
	v_mov_b32_e32 v7, 0
	.loc	1 66 20                         ; fp8_utils_aot.py:66:20
	s_and_saveexec_b64 s[8:9], vcc
	s_cbranch_execz .LBB0_20
; %bb.19:                               ;   in Loop: Header=BB0_4 Depth=1
	.loc	1 0 20                          ; fp8_utils_aot.py:0:20
	v_accvgpr_read_b32 v10, a228
	v_accvgpr_read_b32 v11, a229
	.loc	1 66 59                         ; fp8_utils_aot.py:66:59
	v_lshl_add_u64 v[10:11], s[2:3], 0, v[10:11]
	.loc	1 66 20                         ; fp8_utils_aot.py:66:20
	global_load_ubyte v7, v[10:11], off
.LBB0_20:                               ;   in Loop: Header=BB0_4 Depth=1
	.loc	1 0 20                          ; fp8_utils_aot.py:0:20
	s_or_b64 exec, exec, s[8:9]
	.loc	1 66 20                         ; fp8_utils_aot.py:66:20
	s_and_saveexec_b64 s[8:9], vcc
	s_cbranch_execz .LBB0_22
; %bb.21:                               ;   in Loop: Header=BB0_4 Depth=1
	.loc	1 0 20                          ; fp8_utils_aot.py:0:20
	v_accvgpr_read_b32 v8, a226
	v_accvgpr_read_b32 v9, a227
	.loc	1 66 59                         ; fp8_utils_aot.py:66:59
	v_lshl_add_u64 v[8:9], s[2:3], 0, v[8:9]
	.loc	1 66 20                         ; fp8_utils_aot.py:66:20
	global_load_ubyte v8, v[8:9], off
.LBB0_22:                               ;   in Loop: Header=BB0_4 Depth=1
	.loc	1 0 20                          ; fp8_utils_aot.py:0:20
	s_or_b64 exec, exec, s[8:9]
	v_mov_b32_e32 v9, 0
	v_mov_b32_e32 v10, 0
	.loc	1 66 20                         ; fp8_utils_aot.py:66:20
	s_and_saveexec_b64 s[8:9], vcc
	s_cbranch_execz .LBB0_24
; %bb.23:                               ;   in Loop: Header=BB0_4 Depth=1
	.loc	1 0 20                          ; fp8_utils_aot.py:0:20
	v_accvgpr_read_b32 v10, a224
	v_accvgpr_read_b32 v11, a225
	.loc	1 66 59                         ; fp8_utils_aot.py:66:59
	v_lshl_add_u64 v[10:11], s[2:3], 0, v[10:11]
	.loc	1 66 20                         ; fp8_utils_aot.py:66:20
	global_load_ubyte v10, v[10:11], off
.LBB0_24:                               ;   in Loop: Header=BB0_4 Depth=1
	.loc	1 0 20                          ; fp8_utils_aot.py:0:20
	s_or_b64 exec, exec, s[8:9]
	.loc	1 66 20                         ; fp8_utils_aot.py:66:20
	s_and_saveexec_b64 s[8:9], vcc
	s_cbranch_execz .LBB0_26
; %bb.25:                               ;   in Loop: Header=BB0_4 Depth=1
	.loc	1 0 20                          ; fp8_utils_aot.py:0:20
	v_accvgpr_read_b32 v12, a222
	v_accvgpr_read_b32 v13, a223
	.loc	1 66 59                         ; fp8_utils_aot.py:66:59
	v_lshl_add_u64 v[12:13], s[2:3], 0, v[12:13]
	.loc	1 66 20                         ; fp8_utils_aot.py:66:20
	global_load_ubyte v9, v[12:13], off
.LBB0_26:                               ;   in Loop: Header=BB0_4 Depth=1
	.loc	1 0 20                          ; fp8_utils_aot.py:0:20
	s_or_b64 exec, exec, s[8:9]
	v_mov_b32_e32 v11, 0
	v_mov_b32_e32 v12, 0
	.loc	1 66 20                         ; fp8_utils_aot.py:66:20
	s_and_saveexec_b64 s[8:9], vcc
	s_cbranch_execz .LBB0_28
; %bb.27:                               ;   in Loop: Header=BB0_4 Depth=1
	.loc	1 0 20                          ; fp8_utils_aot.py:0:20
	v_accvgpr_read_b32 v12, a220
	v_accvgpr_read_b32 v13, a221
	.loc	1 66 59                         ; fp8_utils_aot.py:66:59
	v_lshl_add_u64 v[12:13], s[2:3], 0, v[12:13]
	.loc	1 66 20                         ; fp8_utils_aot.py:66:20
	global_load_ubyte v12, v[12:13], off
.LBB0_28:                               ;   in Loop: Header=BB0_4 Depth=1
	.loc	1 0 20                          ; fp8_utils_aot.py:0:20
	s_or_b64 exec, exec, s[8:9]
	.loc	1 66 20                         ; fp8_utils_aot.py:66:20
	s_and_saveexec_b64 s[8:9], vcc
	s_cbranch_execz .LBB0_30
; %bb.29:                               ;   in Loop: Header=BB0_4 Depth=1
	.loc	1 0 20                          ; fp8_utils_aot.py:0:20
	v_accvgpr_read_b32 v14, a218
	v_accvgpr_read_b32 v15, a219
	.loc	1 66 59                         ; fp8_utils_aot.py:66:59
	v_lshl_add_u64 v[14:15], s[2:3], 0, v[14:15]
	.loc	1 66 20                         ; fp8_utils_aot.py:66:20
	global_load_ubyte v11, v[14:15], off
.LBB0_30:                               ;   in Loop: Header=BB0_4 Depth=1
	.loc	1 0 20                          ; fp8_utils_aot.py:0:20
	s_or_b64 exec, exec, s[8:9]
	v_mov_b32_e32 v13, 0
	v_mov_b32_e32 v14, 0
	.loc	1 66 20                         ; fp8_utils_aot.py:66:20
	s_and_saveexec_b64 s[8:9], vcc
	s_cbranch_execz .LBB0_32
; %bb.31:                               ;   in Loop: Header=BB0_4 Depth=1
	.loc	1 0 20                          ; fp8_utils_aot.py:0:20
	v_accvgpr_read_b32 v14, a216
	v_accvgpr_read_b32 v15, a217
	.loc	1 66 59                         ; fp8_utils_aot.py:66:59
	v_lshl_add_u64 v[14:15], s[2:3], 0, v[14:15]
	.loc	1 66 20                         ; fp8_utils_aot.py:66:20
	global_load_ubyte v14, v[14:15], off
.LBB0_32:                               ;   in Loop: Header=BB0_4 Depth=1
	.loc	1 0 20                          ; fp8_utils_aot.py:0:20
	s_or_b64 exec, exec, s[8:9]
	.loc	1 66 20                         ; fp8_utils_aot.py:66:20
	s_and_saveexec_b64 s[8:9], vcc
	s_cbranch_execz .LBB0_34
; %bb.33:                               ;   in Loop: Header=BB0_4 Depth=1
	.loc	1 0 20                          ; fp8_utils_aot.py:0:20
	v_accvgpr_read_b32 v16, a214
	v_accvgpr_read_b32 v17, a215
	.loc	1 66 59                         ; fp8_utils_aot.py:66:59
	v_lshl_add_u64 v[16:17], s[2:3], 0, v[16:17]
	.loc	1 66 20                         ; fp8_utils_aot.py:66:20
	global_load_ubyte v13, v[16:17], off
.LBB0_34:                               ;   in Loop: Header=BB0_4 Depth=1
	.loc	1 0 20                          ; fp8_utils_aot.py:0:20
	s_or_b64 exec, exec, s[8:9]
	v_mov_b32_e32 v16, 0
	v_mov_b32_e32 v15, 0
	.loc	1 66 20                         ; fp8_utils_aot.py:66:20
	s_and_saveexec_b64 s[8:9], vcc
	s_cbranch_execz .LBB0_36
; %bb.35:                               ;   in Loop: Header=BB0_4 Depth=1
	.loc	1 0 20                          ; fp8_utils_aot.py:0:20
	v_accvgpr_read_b32 v18, a212
	v_accvgpr_read_b32 v19, a213
	.loc	1 66 59                         ; fp8_utils_aot.py:66:59
	v_lshl_add_u64 v[18:19], s[2:3], 0, v[18:19]
	.loc	1 66 20                         ; fp8_utils_aot.py:66:20
	global_load_ubyte v15, v[18:19], off
.LBB0_36:                               ;   in Loop: Header=BB0_4 Depth=1
	.loc	1 0 20                          ; fp8_utils_aot.py:0:20
	s_or_b64 exec, exec, s[8:9]
	.loc	1 66 20                         ; fp8_utils_aot.py:66:20
	s_and_saveexec_b64 s[8:9], vcc
	s_cbranch_execz .LBB0_38
; %bb.37:                               ;   in Loop: Header=BB0_4 Depth=1
	.loc	1 0 20                          ; fp8_utils_aot.py:0:20
	v_accvgpr_read_b32 v16, a210
	v_accvgpr_read_b32 v17, a211
	.loc	1 66 59                         ; fp8_utils_aot.py:66:59
	v_lshl_add_u64 v[16:17], s[2:3], 0, v[16:17]
	.loc	1 66 20                         ; fp8_utils_aot.py:66:20
	global_load_ubyte v16, v[16:17], off
.LBB0_38:                               ;   in Loop: Header=BB0_4 Depth=1
	.loc	1 0 20                          ; fp8_utils_aot.py:0:20
	s_or_b64 exec, exec, s[8:9]
	v_mov_b32_e32 v17, 0
	v_mov_b32_e32 v18, 0
	.loc	1 66 20                         ; fp8_utils_aot.py:66:20
	s_and_saveexec_b64 s[8:9], vcc
	s_cbranch_execz .LBB0_40
; %bb.39:                               ;   in Loop: Header=BB0_4 Depth=1
	.loc	1 0 20                          ; fp8_utils_aot.py:0:20
	v_accvgpr_read_b32 v18, a208
	v_accvgpr_read_b32 v19, a209
	.loc	1 66 59                         ; fp8_utils_aot.py:66:59
	v_lshl_add_u64 v[18:19], s[2:3], 0, v[18:19]
	.loc	1 66 20                         ; fp8_utils_aot.py:66:20
	global_load_ubyte v18, v[18:19], off
.LBB0_40:                               ;   in Loop: Header=BB0_4 Depth=1
	.loc	1 0 20                          ; fp8_utils_aot.py:0:20
	s_or_b64 exec, exec, s[8:9]
	.loc	1 66 20                         ; fp8_utils_aot.py:66:20
	s_and_saveexec_b64 s[8:9], vcc
	s_cbranch_execz .LBB0_42
; %bb.41:                               ;   in Loop: Header=BB0_4 Depth=1
	.loc	1 0 20                          ; fp8_utils_aot.py:0:20
	v_accvgpr_read_b32 v20, a206
	v_accvgpr_read_b32 v21, a207
	.loc	1 66 59                         ; fp8_utils_aot.py:66:59
	v_lshl_add_u64 v[20:21], s[2:3], 0, v[20:21]
	.loc	1 66 20                         ; fp8_utils_aot.py:66:20
	global_load_ubyte v17, v[20:21], off
.LBB0_42:                               ;   in Loop: Header=BB0_4 Depth=1
	.loc	1 0 20                          ; fp8_utils_aot.py:0:20
	s_or_b64 exec, exec, s[8:9]
	v_mov_b32_e32 v19, 0
	v_mov_b32_e32 v20, 0
	.loc	1 66 20                         ; fp8_utils_aot.py:66:20
	s_and_saveexec_b64 s[8:9], vcc
	s_cbranch_execz .LBB0_44
; %bb.43:                               ;   in Loop: Header=BB0_4 Depth=1
	.loc	1 0 20                          ; fp8_utils_aot.py:0:20
	v_accvgpr_read_b32 v20, a204
	v_accvgpr_read_b32 v21, a205
	.loc	1 66 59                         ; fp8_utils_aot.py:66:59
	v_lshl_add_u64 v[20:21], s[2:3], 0, v[20:21]
	.loc	1 66 20                         ; fp8_utils_aot.py:66:20
	global_load_ubyte v20, v[20:21], off
.LBB0_44:                               ;   in Loop: Header=BB0_4 Depth=1
	.loc	1 0 20                          ; fp8_utils_aot.py:0:20
	s_or_b64 exec, exec, s[8:9]
	.loc	1 66 20                         ; fp8_utils_aot.py:66:20
	s_and_saveexec_b64 s[8:9], vcc
	s_cbranch_execz .LBB0_46
; %bb.45:                               ;   in Loop: Header=BB0_4 Depth=1
	.loc	1 0 20                          ; fp8_utils_aot.py:0:20
	v_accvgpr_read_b32 v22, a202
	v_accvgpr_read_b32 v23, a203
	.loc	1 66 59                         ; fp8_utils_aot.py:66:59
	v_lshl_add_u64 v[22:23], s[2:3], 0, v[22:23]
	.loc	1 66 20                         ; fp8_utils_aot.py:66:20
	global_load_ubyte v19, v[22:23], off
.LBB0_46:                               ;   in Loop: Header=BB0_4 Depth=1
	.loc	1 0 20                          ; fp8_utils_aot.py:0:20
	s_or_b64 exec, exec, s[8:9]
	v_mov_b32_e32 v21, 0
	v_mov_b32_e32 v22, 0
	.loc	1 66 20                         ; fp8_utils_aot.py:66:20
	s_and_saveexec_b64 s[8:9], vcc
	s_cbranch_execz .LBB0_48
; %bb.47:                               ;   in Loop: Header=BB0_4 Depth=1
	.loc	1 0 20                          ; fp8_utils_aot.py:0:20
	v_accvgpr_read_b32 v22, a200
	v_accvgpr_read_b32 v23, a201
	.loc	1 66 59                         ; fp8_utils_aot.py:66:59
	v_lshl_add_u64 v[22:23], s[2:3], 0, v[22:23]
	.loc	1 66 20                         ; fp8_utils_aot.py:66:20
	global_load_ubyte v22, v[22:23], off
.LBB0_48:                               ;   in Loop: Header=BB0_4 Depth=1
	.loc	1 0 20                          ; fp8_utils_aot.py:0:20
	s_or_b64 exec, exec, s[8:9]
	.loc	1 66 20                         ; fp8_utils_aot.py:66:20
	s_and_saveexec_b64 s[8:9], vcc
	s_cbranch_execz .LBB0_50
; %bb.49:                               ;   in Loop: Header=BB0_4 Depth=1
	.loc	1 0 20                          ; fp8_utils_aot.py:0:20
	v_accvgpr_read_b32 v24, a198
	v_accvgpr_read_b32 v25, a199
	.loc	1 66 59                         ; fp8_utils_aot.py:66:59
	v_lshl_add_u64 v[24:25], s[2:3], 0, v[24:25]
	.loc	1 66 20                         ; fp8_utils_aot.py:66:20
	global_load_ubyte v21, v[24:25], off
.LBB0_50:                               ;   in Loop: Header=BB0_4 Depth=1
	.loc	1 0 20                          ; fp8_utils_aot.py:0:20
	s_or_b64 exec, exec, s[8:9]
	v_mov_b32_e32 v24, 0
	v_mov_b32_e32 v23, 0
	.loc	1 66 20                         ; fp8_utils_aot.py:66:20
	s_and_saveexec_b64 s[8:9], vcc
	s_cbranch_execz .LBB0_52
; %bb.51:                               ;   in Loop: Header=BB0_4 Depth=1
	.loc	1 0 20                          ; fp8_utils_aot.py:0:20
	v_accvgpr_read_b32 v26, a196
	v_accvgpr_read_b32 v27, a197
	.loc	1 66 59                         ; fp8_utils_aot.py:66:59
	v_lshl_add_u64 v[26:27], s[2:3], 0, v[26:27]
	.loc	1 66 20                         ; fp8_utils_aot.py:66:20
	global_load_ubyte v23, v[26:27], off
.LBB0_52:                               ;   in Loop: Header=BB0_4 Depth=1
	.loc	1 0 20                          ; fp8_utils_aot.py:0:20
	s_or_b64 exec, exec, s[8:9]
	.loc	1 66 20                         ; fp8_utils_aot.py:66:20
	s_and_saveexec_b64 s[8:9], vcc
	s_cbranch_execz .LBB0_54
; %bb.53:                               ;   in Loop: Header=BB0_4 Depth=1
	.loc	1 0 20                          ; fp8_utils_aot.py:0:20
	v_accvgpr_read_b32 v24, a194
	v_accvgpr_read_b32 v25, a195
	.loc	1 66 59                         ; fp8_utils_aot.py:66:59
	v_lshl_add_u64 v[24:25], s[2:3], 0, v[24:25]
	.loc	1 66 20                         ; fp8_utils_aot.py:66:20
	global_load_ubyte v24, v[24:25], off
.LBB0_54:                               ;   in Loop: Header=BB0_4 Depth=1
	.loc	1 0 20                          ; fp8_utils_aot.py:0:20
	s_or_b64 exec, exec, s[8:9]
	v_mov_b32_e32 v25, 0
	v_mov_b32_e32 v26, 0
	.loc	1 66 20                         ; fp8_utils_aot.py:66:20
	s_and_saveexec_b64 s[8:9], vcc
	s_cbranch_execz .LBB0_56
; %bb.55:                               ;   in Loop: Header=BB0_4 Depth=1
	.loc	1 0 20                          ; fp8_utils_aot.py:0:20
	v_accvgpr_read_b32 v26, a192
	v_accvgpr_read_b32 v27, a193
	.loc	1 66 59                         ; fp8_utils_aot.py:66:59
	v_lshl_add_u64 v[26:27], s[2:3], 0, v[26:27]
	.loc	1 66 20                         ; fp8_utils_aot.py:66:20
	global_load_ubyte v26, v[26:27], off
.LBB0_56:                               ;   in Loop: Header=BB0_4 Depth=1
	.loc	1 0 20                          ; fp8_utils_aot.py:0:20
	s_or_b64 exec, exec, s[8:9]
	.loc	1 66 20                         ; fp8_utils_aot.py:66:20
	s_and_saveexec_b64 s[8:9], vcc
	s_cbranch_execz .LBB0_58
; %bb.57:                               ;   in Loop: Header=BB0_4 Depth=1
	.loc	1 0 20                          ; fp8_utils_aot.py:0:20
	v_accvgpr_read_b32 v28, a190
	v_accvgpr_read_b32 v29, a191
	.loc	1 66 59                         ; fp8_utils_aot.py:66:59
	v_lshl_add_u64 v[28:29], s[2:3], 0, v[28:29]
	.loc	1 66 20                         ; fp8_utils_aot.py:66:20
	global_load_ubyte v25, v[28:29], off
.LBB0_58:                               ;   in Loop: Header=BB0_4 Depth=1
	.loc	1 0 20                          ; fp8_utils_aot.py:0:20
	s_or_b64 exec, exec, s[8:9]
	v_mov_b32_e32 v27, 0
	v_mov_b32_e32 v28, 0
	.loc	1 66 20                         ; fp8_utils_aot.py:66:20
	s_and_saveexec_b64 s[8:9], vcc
	s_cbranch_execz .LBB0_60
; %bb.59:                               ;   in Loop: Header=BB0_4 Depth=1
	.loc	1 0 20                          ; fp8_utils_aot.py:0:20
	v_accvgpr_read_b32 v28, a188
	v_accvgpr_read_b32 v29, a189
	.loc	1 66 59                         ; fp8_utils_aot.py:66:59
	v_lshl_add_u64 v[28:29], s[2:3], 0, v[28:29]
	.loc	1 66 20                         ; fp8_utils_aot.py:66:20
	global_load_ubyte v28, v[28:29], off
.LBB0_60:                               ;   in Loop: Header=BB0_4 Depth=1
	.loc	1 0 20                          ; fp8_utils_aot.py:0:20
	s_or_b64 exec, exec, s[8:9]
	.loc	1 66 20                         ; fp8_utils_aot.py:66:20
	s_and_saveexec_b64 s[8:9], vcc
	s_cbranch_execz .LBB0_62
; %bb.61:                               ;   in Loop: Header=BB0_4 Depth=1
	.loc	1 0 20                          ; fp8_utils_aot.py:0:20
	v_accvgpr_read_b32 v30, a186
	v_accvgpr_read_b32 v31, a187
	.loc	1 66 59                         ; fp8_utils_aot.py:66:59
	v_lshl_add_u64 v[30:31], s[2:3], 0, v[30:31]
	.loc	1 66 20                         ; fp8_utils_aot.py:66:20
	global_load_ubyte v27, v[30:31], off
.LBB0_62:                               ;   in Loop: Header=BB0_4 Depth=1
	.loc	1 0 20                          ; fp8_utils_aot.py:0:20
	s_or_b64 exec, exec, s[8:9]
	v_mov_b32_e32 v29, 0
	v_mov_b32_e32 v30, 0
	.loc	1 66 20                         ; fp8_utils_aot.py:66:20
	s_and_saveexec_b64 s[8:9], vcc
	s_cbranch_execnz .LBB0_70
; %bb.63:                               ;   in Loop: Header=BB0_4 Depth=1
	.loc	1 0 20                          ; fp8_utils_aot.py:0:20
	s_or_b64 exec, exec, s[8:9]
	.loc	1 66 20                         ; fp8_utils_aot.py:66:20
	s_and_saveexec_b64 s[8:9], vcc
	s_cbranch_execnz .LBB0_71
.LBB0_64:                               ;   in Loop: Header=BB0_4 Depth=1
	.loc	1 0 20                          ; fp8_utils_aot.py:0:20
	s_or_b64 exec, exec, s[8:9]
	v_mov_b32_e32 v31, 0
	.loc	1 66 20                         ; fp8_utils_aot.py:66:20
	s_and_saveexec_b64 s[8:9], vcc
	s_cbranch_execz .LBB0_66
.LBB0_65:                               ;   in Loop: Header=BB0_4 Depth=1
	.loc	1 0 20                          ; fp8_utils_aot.py:0:20
	v_accvgpr_read_b32 v32, a180
	v_accvgpr_read_b32 v33, a181
	.loc	1 66 59                         ; fp8_utils_aot.py:66:59
	v_lshl_add_u64 v[32:33], s[2:3], 0, v[32:33]
	.loc	1 66 20                         ; fp8_utils_aot.py:66:20
	global_load_ubyte v31, v[32:33], off
.LBB0_66:                               ;   in Loop: Header=BB0_4 Depth=1
	.loc	1 0 20                          ; fp8_utils_aot.py:0:20
	s_or_b64 exec, exec, s[8:9]
	.loc	1 66 20                         ; fp8_utils_aot.py:66:20
	s_waitcnt lgkmcnt(0)
	s_barrier
	s_waitcnt vmcnt(0)
	ds_write_b8 v190, v0
	ds_write_b8 v190, v8 offset:2048
	ds_write_b8 v190, v16 offset:4096
	;; [unrolled: 1-line block ×31, first 2 shown]
	v_add_u32_e32 v0, 0x1000, v210
	v_add_u32_e32 v10, 0x1000, v214
	s_waitcnt lgkmcnt(0)
	s_barrier
	ds_read2_b32 v[136:137], v0 offset1:16
	ds_read2_b32 v[6:7], v211 offset1:16
	v_add_u32_e32 v0, 0x1000, v211
	ds_read2_b32 v[128:129], v10 offset1:16
	ds_read2_b32 v[146:147], v215 offset1:16
	v_add_u32_e32 v10, 0x1000, v215
	;; [unrolled: 3-line block ×6, first 2 shown]
	ds_read2_b32 v[8:9], v210 offset1:16
	ds_read2_b32 v[130:131], v0 offset1:16
	;; [unrolled: 1-line block ×4, first 2 shown]
	.loc	1 67 51 is_stmt 1               ; fp8_utils_aot.py:67:51
	s_cmp_ge_i32 s15, s14
	.loc	1 67 20 is_stmt 0               ; fp8_utils_aot.py:67:20
	s_cbranch_scc1 .LBB0_72
; %bb.67:                               ;   in Loop: Header=BB0_4 Depth=1
	.loc	1 0 20                          ; fp8_utils_aot.py:0:20
	v_accvgpr_read_b32 v10, a52
	v_accvgpr_read_b32 v11, a53
	.loc	1 66 59 is_stmt 1               ; fp8_utils_aot.py:66:59
	v_lshl_add_u64 v[10:11], s[4:5], 0, v[10:11]
	.loc	1 67 20                         ; fp8_utils_aot.py:67:20
	global_load_ubyte v11, v[10:11], off
	.loc	1 67 51 is_stmt 0               ; fp8_utils_aot.py:67:51
	s_cmp_ge_i32 s7, s14
	.loc	1 67 20                         ; fp8_utils_aot.py:67:20
	s_cbranch_scc0 .LBB0_73
.LBB0_68:                               ;   in Loop: Header=BB0_4 Depth=1
	.loc	1 0 20                          ; fp8_utils_aot.py:0:20
	v_mov_b32_e32 v12, 0
	.loc	1 67 51                         ; fp8_utils_aot.py:67:51
	s_cmp_ge_i32 s0, s14
	.loc	1 67 20                         ; fp8_utils_aot.py:67:20
	s_cbranch_scc0 .LBB0_74
.LBB0_69:                               ;   in Loop: Header=BB0_4 Depth=1
	.loc	1 0 20                          ; fp8_utils_aot.py:0:20
	v_mov_b32_e32 v13, 0
	.loc	1 67 20                         ; fp8_utils_aot.py:67:20
	s_branch .LBB0_75
.LBB0_70:                               ;   in Loop: Header=BB0_4 Depth=1
	.loc	1 0 20                          ; fp8_utils_aot.py:0:20
	v_accvgpr_read_b32 v30, a184
	v_accvgpr_read_b32 v31, a185
	.loc	1 66 59 is_stmt 1               ; fp8_utils_aot.py:66:59
	v_lshl_add_u64 v[30:31], s[2:3], 0, v[30:31]
	.loc	1 66 20 is_stmt 0               ; fp8_utils_aot.py:66:20
	global_load_ubyte v30, v[30:31], off
	s_or_b64 exec, exec, s[8:9]
	s_and_saveexec_b64 s[8:9], vcc
	s_cbranch_execz .LBB0_64
.LBB0_71:                               ;   in Loop: Header=BB0_4 Depth=1
	.loc	1 0 20                          ; fp8_utils_aot.py:0:20
	v_accvgpr_read_b32 v32, a182
	v_accvgpr_read_b32 v33, a183
	.loc	1 66 59                         ; fp8_utils_aot.py:66:59
	v_lshl_add_u64 v[32:33], s[2:3], 0, v[32:33]
	.loc	1 66 20                         ; fp8_utils_aot.py:66:20
	global_load_ubyte v29, v[32:33], off
	s_or_b64 exec, exec, s[8:9]
	v_mov_b32_e32 v31, 0
	s_and_saveexec_b64 s[8:9], vcc
	s_cbranch_execnz .LBB0_65
	s_branch .LBB0_66
.LBB0_72:                               ;   in Loop: Header=BB0_4 Depth=1
	.loc	1 0 20                          ; fp8_utils_aot.py:0:20
	v_mov_b32_e32 v11, 0
	.loc	1 67 51 is_stmt 1               ; fp8_utils_aot.py:67:51
	s_cmp_ge_i32 s7, s14
	.loc	1 67 20 is_stmt 0               ; fp8_utils_aot.py:67:20
	s_cbranch_scc1 .LBB0_68
.LBB0_73:                               ;   in Loop: Header=BB0_4 Depth=1
	.loc	1 0 20                          ; fp8_utils_aot.py:0:20
	v_accvgpr_read_b32 v12, a178
	v_accvgpr_read_b32 v13, a179
	.loc	1 66 59 is_stmt 1               ; fp8_utils_aot.py:66:59
	v_lshl_add_u64 v[12:13], s[4:5], 0, v[12:13]
	.loc	1 67 20                         ; fp8_utils_aot.py:67:20
	global_load_ubyte v12, v[12:13], off
	.loc	1 67 51 is_stmt 0               ; fp8_utils_aot.py:67:51
	s_cmp_ge_i32 s0, s14
	.loc	1 67 20                         ; fp8_utils_aot.py:67:20
	s_cbranch_scc1 .LBB0_69
.LBB0_74:                               ;   in Loop: Header=BB0_4 Depth=1
	.loc	1 0 20                          ; fp8_utils_aot.py:0:20
	v_accvgpr_read_b32 v14, a176
	v_accvgpr_read_b32 v15, a177
	.loc	1 66 59 is_stmt 1               ; fp8_utils_aot.py:66:59
	v_lshl_add_u64 v[14:15], s[4:5], 0, v[14:15]
	.loc	1 67 20                         ; fp8_utils_aot.py:67:20
	global_load_ubyte v13, v[14:15], off
.LBB0_75:                               ;   in Loop: Header=BB0_4 Depth=1
	.loc	1 67 51 is_stmt 0               ; fp8_utils_aot.py:67:51
	v_readlane_b32 s8, v254, 8
	s_cmp_ge_i32 s8, s14
	.loc	1 67 20                         ; fp8_utils_aot.py:67:20
	s_cbranch_scc1 .LBB0_77
; %bb.76:                               ;   in Loop: Header=BB0_4 Depth=1
	.loc	1 0 20                          ; fp8_utils_aot.py:0:20
	v_accvgpr_read_b32 v14, a174
	v_accvgpr_read_b32 v15, a175
	.loc	1 66 59 is_stmt 1               ; fp8_utils_aot.py:66:59
	v_lshl_add_u64 v[14:15], s[4:5], 0, v[14:15]
	.loc	1 67 20                         ; fp8_utils_aot.py:67:20
	global_load_ubyte v14, v[14:15], off
	s_branch .LBB0_78
.LBB0_77:                               ;   in Loop: Header=BB0_4 Depth=1
	.loc	1 0 20 is_stmt 0                ; fp8_utils_aot.py:0:20
	v_mov_b32_e32 v14, 0
.LBB0_78:                               ;   in Loop: Header=BB0_4 Depth=1
	.loc	1 67 51 is_stmt 1               ; fp8_utils_aot.py:67:51
	v_readlane_b32 s8, v254, 9
	s_cmp_ge_i32 s8, s14
	.loc	1 67 20 is_stmt 0               ; fp8_utils_aot.py:67:20
	s_cbranch_scc1 .LBB0_80
; %bb.79:                               ;   in Loop: Header=BB0_4 Depth=1
	.loc	1 0 20                          ; fp8_utils_aot.py:0:20
	v_accvgpr_read_b32 v16, a172
	v_accvgpr_read_b32 v17, a173
	.loc	1 66 59 is_stmt 1               ; fp8_utils_aot.py:66:59
	v_lshl_add_u64 v[16:17], s[4:5], 0, v[16:17]
	.loc	1 67 20                         ; fp8_utils_aot.py:67:20
	global_load_ubyte v15, v[16:17], off
	s_branch .LBB0_81
.LBB0_80:                               ;   in Loop: Header=BB0_4 Depth=1
	.loc	1 0 20 is_stmt 0                ; fp8_utils_aot.py:0:20
	v_mov_b32_e32 v15, 0
.LBB0_81:                               ;   in Loop: Header=BB0_4 Depth=1
	.loc	1 67 51 is_stmt 1               ; fp8_utils_aot.py:67:51
	v_readlane_b32 s8, v254, 10
	s_cmp_ge_i32 s8, s14
	.loc	1 67 20 is_stmt 0               ; fp8_utils_aot.py:67:20
	s_cbranch_scc1 .LBB0_83
; %bb.82:                               ;   in Loop: Header=BB0_4 Depth=1
	.loc	1 0 20                          ; fp8_utils_aot.py:0:20
	v_accvgpr_read_b32 v16, a170
	v_accvgpr_read_b32 v17, a171
	.loc	1 66 59 is_stmt 1               ; fp8_utils_aot.py:66:59
	v_lshl_add_u64 v[16:17], s[4:5], 0, v[16:17]
	.loc	1 67 20                         ; fp8_utils_aot.py:67:20
	global_load_ubyte v16, v[16:17], off
	s_branch .LBB0_84
.LBB0_83:                               ;   in Loop: Header=BB0_4 Depth=1
	.loc	1 0 20 is_stmt 0                ; fp8_utils_aot.py:0:20
	v_mov_b32_e32 v16, 0
.LBB0_84:                               ;   in Loop: Header=BB0_4 Depth=1
	.loc	1 67 51 is_stmt 1               ; fp8_utils_aot.py:67:51
	v_readlane_b32 s8, v254, 11
	s_cmp_ge_i32 s8, s14
	.loc	1 67 20 is_stmt 0               ; fp8_utils_aot.py:67:20
	s_cbranch_scc1 .LBB0_86
; %bb.85:                               ;   in Loop: Header=BB0_4 Depth=1
	.loc	1 0 20                          ; fp8_utils_aot.py:0:20
	v_accvgpr_read_b32 v18, a168
	v_accvgpr_read_b32 v19, a169
	.loc	1 66 59 is_stmt 1               ; fp8_utils_aot.py:66:59
	v_lshl_add_u64 v[18:19], s[4:5], 0, v[18:19]
	.loc	1 67 20                         ; fp8_utils_aot.py:67:20
	global_load_ubyte v17, v[18:19], off
	s_branch .LBB0_87
.LBB0_86:                               ;   in Loop: Header=BB0_4 Depth=1
	.loc	1 0 20 is_stmt 0                ; fp8_utils_aot.py:0:20
	v_mov_b32_e32 v17, 0
.LBB0_87:                               ;   in Loop: Header=BB0_4 Depth=1
	.loc	1 67 51 is_stmt 1               ; fp8_utils_aot.py:67:51
	v_readlane_b32 s8, v254, 12
	s_cmp_ge_i32 s8, s14
	.loc	1 67 20 is_stmt 0               ; fp8_utils_aot.py:67:20
	s_cbranch_scc1 .LBB0_89
; %bb.88:                               ;   in Loop: Header=BB0_4 Depth=1
	.loc	1 0 20                          ; fp8_utils_aot.py:0:20
	v_accvgpr_read_b32 v18, a166
	v_accvgpr_read_b32 v19, a167
	.loc	1 66 59 is_stmt 1               ; fp8_utils_aot.py:66:59
	v_lshl_add_u64 v[18:19], s[4:5], 0, v[18:19]
	.loc	1 67 20                         ; fp8_utils_aot.py:67:20
	global_load_ubyte v18, v[18:19], off
	s_branch .LBB0_90
.LBB0_89:                               ;   in Loop: Header=BB0_4 Depth=1
	.loc	1 0 20 is_stmt 0                ; fp8_utils_aot.py:0:20
	v_mov_b32_e32 v18, 0
.LBB0_90:                               ;   in Loop: Header=BB0_4 Depth=1
	.loc	1 67 51 is_stmt 1               ; fp8_utils_aot.py:67:51
	v_readlane_b32 s8, v254, 13
	s_cmp_ge_i32 s8, s14
	.loc	1 67 20 is_stmt 0               ; fp8_utils_aot.py:67:20
	s_cbranch_scc1 .LBB0_92
; %bb.91:                               ;   in Loop: Header=BB0_4 Depth=1
	.loc	1 0 20                          ; fp8_utils_aot.py:0:20
	v_accvgpr_read_b32 v20, a164
	v_accvgpr_read_b32 v21, a165
	.loc	1 66 59 is_stmt 1               ; fp8_utils_aot.py:66:59
	v_lshl_add_u64 v[20:21], s[4:5], 0, v[20:21]
	.loc	1 67 20                         ; fp8_utils_aot.py:67:20
	global_load_ubyte v20, v[20:21], off
	s_branch .LBB0_93
.LBB0_92:                               ;   in Loop: Header=BB0_4 Depth=1
	.loc	1 0 20 is_stmt 0                ; fp8_utils_aot.py:0:20
	v_mov_b32_e32 v20, 0
.LBB0_93:                               ;   in Loop: Header=BB0_4 Depth=1
	.loc	1 67 51 is_stmt 1               ; fp8_utils_aot.py:67:51
	v_readlane_b32 s8, v254, 14
	s_cmp_ge_i32 s8, s14
	.loc	1 67 20 is_stmt 0               ; fp8_utils_aot.py:67:20
	s_cbranch_scc1 .LBB0_95
; %bb.94:                               ;   in Loop: Header=BB0_4 Depth=1
	.loc	1 0 20                          ; fp8_utils_aot.py:0:20
	v_accvgpr_read_b32 v22, a162
	v_accvgpr_read_b32 v23, a163
	.loc	1 66 59 is_stmt 1               ; fp8_utils_aot.py:66:59
	v_lshl_add_u64 v[22:23], s[4:5], 0, v[22:23]
	.loc	1 67 20                         ; fp8_utils_aot.py:67:20
	global_load_ubyte v21, v[22:23], off
	s_branch .LBB0_96
.LBB0_95:                               ;   in Loop: Header=BB0_4 Depth=1
	.loc	1 0 20 is_stmt 0                ; fp8_utils_aot.py:0:20
	v_mov_b32_e32 v21, 0
.LBB0_96:                               ;   in Loop: Header=BB0_4 Depth=1
	.loc	1 67 51 is_stmt 1               ; fp8_utils_aot.py:67:51
	v_readlane_b32 s8, v254, 15
	s_cmp_ge_i32 s8, s14
	.loc	1 67 20 is_stmt 0               ; fp8_utils_aot.py:67:20
	s_cbranch_scc1 .LBB0_98
; %bb.97:                               ;   in Loop: Header=BB0_4 Depth=1
	.loc	1 0 20                          ; fp8_utils_aot.py:0:20
	v_accvgpr_read_b32 v22, a160
	v_accvgpr_read_b32 v23, a161
	.loc	1 66 59 is_stmt 1               ; fp8_utils_aot.py:66:59
	v_lshl_add_u64 v[22:23], s[4:5], 0, v[22:23]
	.loc	1 67 20                         ; fp8_utils_aot.py:67:20
	global_load_ubyte v22, v[22:23], off
	s_branch .LBB0_99
.LBB0_98:                               ;   in Loop: Header=BB0_4 Depth=1
	.loc	1 0 20 is_stmt 0                ; fp8_utils_aot.py:0:20
	v_mov_b32_e32 v22, 0
.LBB0_99:                               ;   in Loop: Header=BB0_4 Depth=1
	.loc	1 67 51 is_stmt 1               ; fp8_utils_aot.py:67:51
	v_readlane_b32 s8, v254, 16
	s_cmp_ge_i32 s8, s14
	.loc	1 67 20 is_stmt 0               ; fp8_utils_aot.py:67:20
	s_cbranch_scc1 .LBB0_101
; %bb.100:                              ;   in Loop: Header=BB0_4 Depth=1
	.loc	1 0 20                          ; fp8_utils_aot.py:0:20
	v_accvgpr_read_b32 v24, a158
	v_accvgpr_read_b32 v25, a159
	.loc	1 66 59 is_stmt 1               ; fp8_utils_aot.py:66:59
	v_lshl_add_u64 v[24:25], s[4:5], 0, v[24:25]
	.loc	1 67 20                         ; fp8_utils_aot.py:67:20
	global_load_ubyte v23, v[24:25], off
	s_branch .LBB0_102
.LBB0_101:                              ;   in Loop: Header=BB0_4 Depth=1
	.loc	1 0 20 is_stmt 0                ; fp8_utils_aot.py:0:20
	v_mov_b32_e32 v23, 0
.LBB0_102:                              ;   in Loop: Header=BB0_4 Depth=1
	.loc	1 67 51 is_stmt 1               ; fp8_utils_aot.py:67:51
	v_readlane_b32 s8, v254, 17
	s_cmp_ge_i32 s8, s14
	.loc	1 67 20 is_stmt 0               ; fp8_utils_aot.py:67:20
	s_cbranch_scc1 .LBB0_104
; %bb.103:                              ;   in Loop: Header=BB0_4 Depth=1
	.loc	1 0 20                          ; fp8_utils_aot.py:0:20
	v_accvgpr_read_b32 v24, a156
	v_accvgpr_read_b32 v25, a157
	.loc	1 66 59 is_stmt 1               ; fp8_utils_aot.py:66:59
	v_lshl_add_u64 v[24:25], s[4:5], 0, v[24:25]
	.loc	1 67 20                         ; fp8_utils_aot.py:67:20
	global_load_ubyte v24, v[24:25], off
	s_branch .LBB0_105
.LBB0_104:                              ;   in Loop: Header=BB0_4 Depth=1
	.loc	1 0 20 is_stmt 0                ; fp8_utils_aot.py:0:20
	v_mov_b32_e32 v24, 0
.LBB0_105:                              ;   in Loop: Header=BB0_4 Depth=1
	.loc	1 67 51 is_stmt 1               ; fp8_utils_aot.py:67:51
	v_readlane_b32 s8, v254, 18
	s_cmp_ge_i32 s8, s14
	.loc	1 67 20 is_stmt 0               ; fp8_utils_aot.py:67:20
	s_cbranch_scc1 .LBB0_107
; %bb.106:                              ;   in Loop: Header=BB0_4 Depth=1
	.loc	1 0 20                          ; fp8_utils_aot.py:0:20
	v_accvgpr_read_b32 v26, a154
	v_accvgpr_read_b32 v27, a155
	.loc	1 66 59 is_stmt 1               ; fp8_utils_aot.py:66:59
	v_lshl_add_u64 v[26:27], s[4:5], 0, v[26:27]
	.loc	1 67 20                         ; fp8_utils_aot.py:67:20
	global_load_ubyte v25, v[26:27], off
	s_branch .LBB0_108
.LBB0_107:                              ;   in Loop: Header=BB0_4 Depth=1
	.loc	1 0 20 is_stmt 0                ; fp8_utils_aot.py:0:20
	v_mov_b32_e32 v25, 0
.LBB0_108:                              ;   in Loop: Header=BB0_4 Depth=1
	.loc	1 67 51 is_stmt 1               ; fp8_utils_aot.py:67:51
	v_readlane_b32 s8, v254, 19
	s_cmp_ge_i32 s8, s14
	.loc	1 67 20 is_stmt 0               ; fp8_utils_aot.py:67:20
	s_cbranch_scc1 .LBB0_110
; %bb.109:                              ;   in Loop: Header=BB0_4 Depth=1
	.loc	1 0 20                          ; fp8_utils_aot.py:0:20
	v_accvgpr_read_b32 v26, a152
	v_accvgpr_read_b32 v27, a153
	.loc	1 66 59 is_stmt 1               ; fp8_utils_aot.py:66:59
	v_lshl_add_u64 v[26:27], s[4:5], 0, v[26:27]
	.loc	1 67 20                         ; fp8_utils_aot.py:67:20
	global_load_ubyte v26, v[26:27], off
	s_branch .LBB0_111
.LBB0_110:                              ;   in Loop: Header=BB0_4 Depth=1
	.loc	1 0 20 is_stmt 0                ; fp8_utils_aot.py:0:20
	v_mov_b32_e32 v26, 0
.LBB0_111:                              ;   in Loop: Header=BB0_4 Depth=1
	.loc	1 67 51 is_stmt 1               ; fp8_utils_aot.py:67:51
	v_readlane_b32 s8, v254, 20
	s_cmp_ge_i32 s8, s14
	.loc	1 67 20 is_stmt 0               ; fp8_utils_aot.py:67:20
	s_cbranch_scc1 .LBB0_113
; %bb.112:                              ;   in Loop: Header=BB0_4 Depth=1
	.loc	1 0 20                          ; fp8_utils_aot.py:0:20
	v_accvgpr_read_b32 v28, a150
	v_accvgpr_read_b32 v29, a151
	.loc	1 66 59 is_stmt 1               ; fp8_utils_aot.py:66:59
	v_lshl_add_u64 v[28:29], s[4:5], 0, v[28:29]
	.loc	1 67 20                         ; fp8_utils_aot.py:67:20
	global_load_ubyte v27, v[28:29], off
	s_branch .LBB0_114
.LBB0_113:                              ;   in Loop: Header=BB0_4 Depth=1
	.loc	1 0 20 is_stmt 0                ; fp8_utils_aot.py:0:20
	v_mov_b32_e32 v27, 0
.LBB0_114:                              ;   in Loop: Header=BB0_4 Depth=1
	.loc	1 67 51 is_stmt 1               ; fp8_utils_aot.py:67:51
	v_readlane_b32 s8, v254, 21
	s_cmp_ge_i32 s8, s14
	.loc	1 67 20 is_stmt 0               ; fp8_utils_aot.py:67:20
	s_cbranch_scc1 .LBB0_116
; %bb.115:                              ;   in Loop: Header=BB0_4 Depth=1
	.loc	1 0 20                          ; fp8_utils_aot.py:0:20
	v_accvgpr_read_b32 v28, a148
	v_accvgpr_read_b32 v29, a149
	.loc	1 66 59 is_stmt 1               ; fp8_utils_aot.py:66:59
	v_lshl_add_u64 v[28:29], s[4:5], 0, v[28:29]
	.loc	1 67 20                         ; fp8_utils_aot.py:67:20
	global_load_ubyte v28, v[28:29], off
	s_branch .LBB0_117
.LBB0_116:                              ;   in Loop: Header=BB0_4 Depth=1
	.loc	1 0 20 is_stmt 0                ; fp8_utils_aot.py:0:20
	v_mov_b32_e32 v28, 0
.LBB0_117:                              ;   in Loop: Header=BB0_4 Depth=1
	.loc	1 67 51 is_stmt 1               ; fp8_utils_aot.py:67:51
	v_readlane_b32 s8, v254, 22
	s_cmp_ge_i32 s8, s14
	.loc	1 67 20 is_stmt 0               ; fp8_utils_aot.py:67:20
	s_cbranch_scc1 .LBB0_119
; %bb.118:                              ;   in Loop: Header=BB0_4 Depth=1
	.loc	1 0 20                          ; fp8_utils_aot.py:0:20
	v_accvgpr_read_b32 v30, a146
	v_accvgpr_read_b32 v31, a147
	.loc	1 66 59 is_stmt 1               ; fp8_utils_aot.py:66:59
	v_lshl_add_u64 v[30:31], s[4:5], 0, v[30:31]
	.loc	1 67 20                         ; fp8_utils_aot.py:67:20
	global_load_ubyte v29, v[30:31], off
	s_branch .LBB0_120
.LBB0_119:                              ;   in Loop: Header=BB0_4 Depth=1
	.loc	1 0 20 is_stmt 0                ; fp8_utils_aot.py:0:20
	v_mov_b32_e32 v29, 0
.LBB0_120:                              ;   in Loop: Header=BB0_4 Depth=1
	.loc	1 67 51 is_stmt 1               ; fp8_utils_aot.py:67:51
	v_readlane_b32 s8, v254, 23
	s_cmp_ge_i32 s8, s14
	.loc	1 67 20 is_stmt 0               ; fp8_utils_aot.py:67:20
	s_cbranch_scc1 .LBB0_122
; %bb.121:                              ;   in Loop: Header=BB0_4 Depth=1
	.loc	1 0 20                          ; fp8_utils_aot.py:0:20
	v_accvgpr_read_b32 v30, a144
	v_accvgpr_read_b32 v31, a145
	.loc	1 66 59 is_stmt 1               ; fp8_utils_aot.py:66:59
	v_lshl_add_u64 v[30:31], s[4:5], 0, v[30:31]
	.loc	1 67 20                         ; fp8_utils_aot.py:67:20
	global_load_ubyte v30, v[30:31], off
	s_branch .LBB0_123
.LBB0_122:                              ;   in Loop: Header=BB0_4 Depth=1
	.loc	1 0 20 is_stmt 0                ; fp8_utils_aot.py:0:20
	v_mov_b32_e32 v30, 0
.LBB0_123:                              ;   in Loop: Header=BB0_4 Depth=1
	.loc	1 67 51 is_stmt 1               ; fp8_utils_aot.py:67:51
	v_readlane_b32 s8, v254, 24
	s_cmp_ge_i32 s8, s14
	.loc	1 67 20 is_stmt 0               ; fp8_utils_aot.py:67:20
	s_cbranch_scc1 .LBB0_125
; %bb.124:                              ;   in Loop: Header=BB0_4 Depth=1
	.loc	1 0 20                          ; fp8_utils_aot.py:0:20
	v_accvgpr_read_b32 v32, a142
	v_accvgpr_read_b32 v33, a143
	.loc	1 66 59 is_stmt 1               ; fp8_utils_aot.py:66:59
	v_lshl_add_u64 v[32:33], s[4:5], 0, v[32:33]
	.loc	1 67 20                         ; fp8_utils_aot.py:67:20
	global_load_ubyte v31, v[32:33], off
	s_branch .LBB0_126
.LBB0_125:                              ;   in Loop: Header=BB0_4 Depth=1
	.loc	1 0 20 is_stmt 0                ; fp8_utils_aot.py:0:20
	v_mov_b32_e32 v31, 0
.LBB0_126:                              ;   in Loop: Header=BB0_4 Depth=1
	.loc	1 67 51 is_stmt 1               ; fp8_utils_aot.py:67:51
	v_readlane_b32 s8, v254, 25
	s_cmp_ge_i32 s8, s14
	.loc	1 67 20 is_stmt 0               ; fp8_utils_aot.py:67:20
	s_cbranch_scc1 .LBB0_128
; %bb.127:                              ;   in Loop: Header=BB0_4 Depth=1
	.loc	1 0 20                          ; fp8_utils_aot.py:0:20
	v_accvgpr_read_b32 v32, a140
	v_accvgpr_read_b32 v33, a141
	.loc	1 66 59 is_stmt 1               ; fp8_utils_aot.py:66:59
	v_lshl_add_u64 v[32:33], s[4:5], 0, v[32:33]
	.loc	1 67 20                         ; fp8_utils_aot.py:67:20
	global_load_ubyte v32, v[32:33], off
	s_branch .LBB0_129
.LBB0_128:                              ;   in Loop: Header=BB0_4 Depth=1
	.loc	1 0 20 is_stmt 0                ; fp8_utils_aot.py:0:20
	v_mov_b32_e32 v32, 0
.LBB0_129:                              ;   in Loop: Header=BB0_4 Depth=1
	.loc	1 67 51 is_stmt 1               ; fp8_utils_aot.py:67:51
	v_readlane_b32 s8, v254, 26
	s_cmp_ge_i32 s8, s14
	.loc	1 67 20 is_stmt 0               ; fp8_utils_aot.py:67:20
	s_cbranch_scc1 .LBB0_131
; %bb.130:                              ;   in Loop: Header=BB0_4 Depth=1
	.loc	1 0 20                          ; fp8_utils_aot.py:0:20
	v_accvgpr_read_b32 v34, a138
	v_accvgpr_read_b32 v35, a139
	.loc	1 66 59 is_stmt 1               ; fp8_utils_aot.py:66:59
	v_lshl_add_u64 v[34:35], s[4:5], 0, v[34:35]
	.loc	1 67 20                         ; fp8_utils_aot.py:67:20
	global_load_ubyte v33, v[34:35], off
	s_branch .LBB0_132
.LBB0_131:                              ;   in Loop: Header=BB0_4 Depth=1
	.loc	1 0 20 is_stmt 0                ; fp8_utils_aot.py:0:20
	v_mov_b32_e32 v33, 0
.LBB0_132:                              ;   in Loop: Header=BB0_4 Depth=1
	.loc	1 67 51 is_stmt 1               ; fp8_utils_aot.py:67:51
	v_readlane_b32 s8, v255, 14
	s_cmp_ge_i32 s8, s14
	.loc	1 67 20 is_stmt 0               ; fp8_utils_aot.py:67:20
	s_cbranch_scc1 .LBB0_134
; %bb.133:                              ;   in Loop: Header=BB0_4 Depth=1
	.loc	1 0 20                          ; fp8_utils_aot.py:0:20
	v_accvgpr_read_b32 v34, a136
	v_accvgpr_read_b32 v35, a137
	.loc	1 66 59 is_stmt 1               ; fp8_utils_aot.py:66:59
	v_lshl_add_u64 v[34:35], s[4:5], 0, v[34:35]
	.loc	1 67 20                         ; fp8_utils_aot.py:67:20
	global_load_ubyte v34, v[34:35], off
	s_branch .LBB0_135
.LBB0_134:                              ;   in Loop: Header=BB0_4 Depth=1
	.loc	1 0 20 is_stmt 0                ; fp8_utils_aot.py:0:20
	v_mov_b32_e32 v34, 0
.LBB0_135:                              ;   in Loop: Header=BB0_4 Depth=1
	.loc	1 67 51 is_stmt 1               ; fp8_utils_aot.py:67:51
	v_readlane_b32 s8, v255, 13
	s_cmp_ge_i32 s8, s14
	.loc	1 67 20 is_stmt 0               ; fp8_utils_aot.py:67:20
	s_cbranch_scc1 .LBB0_137
; %bb.136:                              ;   in Loop: Header=BB0_4 Depth=1
	.loc	1 0 20                          ; fp8_utils_aot.py:0:20
	v_accvgpr_read_b32 v36, a134
	v_accvgpr_read_b32 v37, a135
	.loc	1 66 59 is_stmt 1               ; fp8_utils_aot.py:66:59
	v_lshl_add_u64 v[36:37], s[4:5], 0, v[36:37]
	.loc	1 67 20                         ; fp8_utils_aot.py:67:20
	global_load_ubyte v35, v[36:37], off
	s_branch .LBB0_138
.LBB0_137:                              ;   in Loop: Header=BB0_4 Depth=1
	.loc	1 0 20 is_stmt 0                ; fp8_utils_aot.py:0:20
	v_mov_b32_e32 v35, 0
.LBB0_138:                              ;   in Loop: Header=BB0_4 Depth=1
	.loc	1 67 51 is_stmt 1               ; fp8_utils_aot.py:67:51
	v_readlane_b32 s8, v255, 12
	s_cmp_ge_i32 s8, s14
	.loc	1 67 20 is_stmt 0               ; fp8_utils_aot.py:67:20
	s_cbranch_scc1 .LBB0_140
; %bb.139:                              ;   in Loop: Header=BB0_4 Depth=1
	.loc	1 0 20                          ; fp8_utils_aot.py:0:20
	v_accvgpr_read_b32 v36, a132
	v_accvgpr_read_b32 v37, a133
	.loc	1 66 59 is_stmt 1               ; fp8_utils_aot.py:66:59
	v_lshl_add_u64 v[36:37], s[4:5], 0, v[36:37]
	.loc	1 67 20                         ; fp8_utils_aot.py:67:20
	global_load_ubyte v36, v[36:37], off
	s_branch .LBB0_141
.LBB0_140:                              ;   in Loop: Header=BB0_4 Depth=1
	.loc	1 0 20 is_stmt 0                ; fp8_utils_aot.py:0:20
	v_mov_b32_e32 v36, 0
.LBB0_141:                              ;   in Loop: Header=BB0_4 Depth=1
	.loc	1 67 51 is_stmt 1               ; fp8_utils_aot.py:67:51
	v_readlane_b32 s8, v255, 11
	s_cmp_ge_i32 s8, s14
	.loc	1 67 20 is_stmt 0               ; fp8_utils_aot.py:67:20
	s_cbranch_scc1 .LBB0_143
; %bb.142:                              ;   in Loop: Header=BB0_4 Depth=1
	.loc	1 0 20                          ; fp8_utils_aot.py:0:20
	v_accvgpr_read_b32 v38, a130
	v_accvgpr_read_b32 v39, a131
	.loc	1 66 59 is_stmt 1               ; fp8_utils_aot.py:66:59
	v_lshl_add_u64 v[38:39], s[4:5], 0, v[38:39]
	.loc	1 67 20                         ; fp8_utils_aot.py:67:20
	global_load_ubyte v37, v[38:39], off
	s_branch .LBB0_144
.LBB0_143:                              ;   in Loop: Header=BB0_4 Depth=1
	.loc	1 0 20 is_stmt 0                ; fp8_utils_aot.py:0:20
	v_mov_b32_e32 v37, 0
.LBB0_144:                              ;   in Loop: Header=BB0_4 Depth=1
	.loc	1 67 51 is_stmt 1               ; fp8_utils_aot.py:67:51
	v_readlane_b32 s8, v255, 10
	s_cmp_ge_i32 s8, s14
	.loc	1 67 20 is_stmt 0               ; fp8_utils_aot.py:67:20
	s_cbranch_scc1 .LBB0_146
; %bb.145:                              ;   in Loop: Header=BB0_4 Depth=1
	.loc	1 0 20                          ; fp8_utils_aot.py:0:20
	v_accvgpr_read_b32 v38, a128
	v_accvgpr_read_b32 v39, a129
	.loc	1 66 59 is_stmt 1               ; fp8_utils_aot.py:66:59
	v_lshl_add_u64 v[38:39], s[4:5], 0, v[38:39]
	.loc	1 67 20                         ; fp8_utils_aot.py:67:20
	global_load_ubyte v38, v[38:39], off
	s_branch .LBB0_147
.LBB0_146:                              ;   in Loop: Header=BB0_4 Depth=1
	.loc	1 0 20 is_stmt 0                ; fp8_utils_aot.py:0:20
	v_mov_b32_e32 v38, 0
.LBB0_147:                              ;   in Loop: Header=BB0_4 Depth=1
	.loc	1 67 51 is_stmt 1               ; fp8_utils_aot.py:67:51
	v_readlane_b32 s8, v255, 9
	s_cmp_ge_i32 s8, s14
	.loc	1 67 20 is_stmt 0               ; fp8_utils_aot.py:67:20
	s_cbranch_scc1 .LBB0_149
; %bb.148:                              ;   in Loop: Header=BB0_4 Depth=1
	.loc	1 0 20                          ; fp8_utils_aot.py:0:20
	v_accvgpr_read_b32 v40, a126
	v_accvgpr_read_b32 v41, a127
	.loc	1 66 59 is_stmt 1               ; fp8_utils_aot.py:66:59
	v_lshl_add_u64 v[40:41], s[4:5], 0, v[40:41]
	.loc	1 67 20                         ; fp8_utils_aot.py:67:20
	global_load_ubyte v39, v[40:41], off
	s_branch .LBB0_150
.LBB0_149:                              ;   in Loop: Header=BB0_4 Depth=1
	.loc	1 0 20 is_stmt 0                ; fp8_utils_aot.py:0:20
	v_mov_b32_e32 v39, 0
.LBB0_150:                              ;   in Loop: Header=BB0_4 Depth=1
	.loc	1 67 51 is_stmt 1               ; fp8_utils_aot.py:67:51
	v_readlane_b32 s8, v255, 8
	s_cmp_ge_i32 s8, s14
	.loc	1 67 20 is_stmt 0               ; fp8_utils_aot.py:67:20
	s_cbranch_scc1 .LBB0_152
; %bb.151:                              ;   in Loop: Header=BB0_4 Depth=1
	.loc	1 0 20                          ; fp8_utils_aot.py:0:20
	v_accvgpr_read_b32 v40, a124
	v_accvgpr_read_b32 v41, a125
	.loc	1 66 59 is_stmt 1               ; fp8_utils_aot.py:66:59
	v_lshl_add_u64 v[40:41], s[4:5], 0, v[40:41]
	.loc	1 67 20                         ; fp8_utils_aot.py:67:20
	global_load_ubyte v40, v[40:41], off
	s_branch .LBB0_153
.LBB0_152:                              ;   in Loop: Header=BB0_4 Depth=1
	.loc	1 0 20 is_stmt 0                ; fp8_utils_aot.py:0:20
	v_mov_b32_e32 v40, 0
.LBB0_153:                              ;   in Loop: Header=BB0_4 Depth=1
	.loc	1 67 51 is_stmt 1               ; fp8_utils_aot.py:67:51
	v_readlane_b32 s8, v255, 7
	s_cmp_ge_i32 s8, s14
	.loc	1 67 20 is_stmt 0               ; fp8_utils_aot.py:67:20
	s_cbranch_scc1 .LBB0_155
; %bb.154:                              ;   in Loop: Header=BB0_4 Depth=1
	.loc	1 0 20                          ; fp8_utils_aot.py:0:20
	v_accvgpr_read_b32 v42, a122
	v_accvgpr_read_b32 v43, a123
	.loc	1 66 59 is_stmt 1               ; fp8_utils_aot.py:66:59
	v_lshl_add_u64 v[42:43], s[4:5], 0, v[42:43]
	.loc	1 67 20                         ; fp8_utils_aot.py:67:20
	global_load_ubyte v41, v[42:43], off
	s_branch .LBB0_156
.LBB0_155:                              ;   in Loop: Header=BB0_4 Depth=1
	.loc	1 0 20 is_stmt 0                ; fp8_utils_aot.py:0:20
	v_mov_b32_e32 v41, 0
.LBB0_156:                              ;   in Loop: Header=BB0_4 Depth=1
	.loc	1 67 51 is_stmt 1               ; fp8_utils_aot.py:67:51
	v_readlane_b32 s8, v255, 6
	s_cmp_ge_i32 s8, s14
	.loc	1 67 20 is_stmt 0               ; fp8_utils_aot.py:67:20
	s_cbranch_scc1 .LBB0_158
; %bb.157:                              ;   in Loop: Header=BB0_4 Depth=1
	.loc	1 0 20                          ; fp8_utils_aot.py:0:20
	v_accvgpr_read_b32 v42, a120
	v_accvgpr_read_b32 v43, a121
	.loc	1 66 59 is_stmt 1               ; fp8_utils_aot.py:66:59
	v_lshl_add_u64 v[42:43], s[4:5], 0, v[42:43]
	.loc	1 67 20                         ; fp8_utils_aot.py:67:20
	global_load_ubyte v42, v[42:43], off
	s_branch .LBB0_159
.LBB0_158:                              ;   in Loop: Header=BB0_4 Depth=1
	.loc	1 0 20 is_stmt 0                ; fp8_utils_aot.py:0:20
	v_mov_b32_e32 v42, 0
.LBB0_159:                              ;   in Loop: Header=BB0_4 Depth=1
	.loc	1 67 51 is_stmt 1               ; fp8_utils_aot.py:67:51
	v_readlane_b32 s8, v255, 5
	s_cmp_ge_i32 s8, s14
	.loc	1 67 20 is_stmt 0               ; fp8_utils_aot.py:67:20
	s_cbranch_scc1 .LBB0_161
; %bb.160:                              ;   in Loop: Header=BB0_4 Depth=1
	.loc	1 0 20                          ; fp8_utils_aot.py:0:20
	v_accvgpr_read_b32 v44, a118
	v_accvgpr_read_b32 v45, a119
	.loc	1 66 59 is_stmt 1               ; fp8_utils_aot.py:66:59
	v_lshl_add_u64 v[44:45], s[4:5], 0, v[44:45]
	.loc	1 67 20                         ; fp8_utils_aot.py:67:20
	global_load_ubyte v43, v[44:45], off
	s_branch .LBB0_162
.LBB0_161:                              ;   in Loop: Header=BB0_4 Depth=1
	.loc	1 0 20 is_stmt 0                ; fp8_utils_aot.py:0:20
	v_mov_b32_e32 v43, 0
.LBB0_162:                              ;   in Loop: Header=BB0_4 Depth=1
	.loc	1 67 51 is_stmt 1               ; fp8_utils_aot.py:67:51
	v_readlane_b32 s8, v255, 4
	s_cmp_ge_i32 s8, s14
	.loc	1 67 20 is_stmt 0               ; fp8_utils_aot.py:67:20
	s_cbranch_scc1 .LBB0_164
; %bb.163:                              ;   in Loop: Header=BB0_4 Depth=1
	.loc	1 0 20                          ; fp8_utils_aot.py:0:20
	v_accvgpr_read_b32 v44, a116
	v_accvgpr_read_b32 v45, a117
	.loc	1 66 59 is_stmt 1               ; fp8_utils_aot.py:66:59
	v_lshl_add_u64 v[44:45], s[4:5], 0, v[44:45]
	.loc	1 67 20                         ; fp8_utils_aot.py:67:20
	global_load_ubyte v44, v[44:45], off
	s_branch .LBB0_165
.LBB0_164:                              ;   in Loop: Header=BB0_4 Depth=1
	.loc	1 0 20 is_stmt 0                ; fp8_utils_aot.py:0:20
	v_mov_b32_e32 v44, 0
.LBB0_165:                              ;   in Loop: Header=BB0_4 Depth=1
	.loc	1 67 51 is_stmt 1               ; fp8_utils_aot.py:67:51
	v_readlane_b32 s8, v255, 3
	s_cmp_ge_i32 s8, s14
	.loc	1 67 20 is_stmt 0               ; fp8_utils_aot.py:67:20
	s_cbranch_scc1 .LBB0_167
; %bb.166:                              ;   in Loop: Header=BB0_4 Depth=1
	.loc	1 0 20                          ; fp8_utils_aot.py:0:20
	v_accvgpr_read_b32 v46, a114
	v_accvgpr_read_b32 v47, a115
	.loc	1 66 59 is_stmt 1               ; fp8_utils_aot.py:66:59
	v_lshl_add_u64 v[46:47], s[4:5], 0, v[46:47]
	.loc	1 67 20                         ; fp8_utils_aot.py:67:20
	global_load_ubyte v45, v[46:47], off
	s_branch .LBB0_168
.LBB0_167:                              ;   in Loop: Header=BB0_4 Depth=1
	.loc	1 0 20 is_stmt 0                ; fp8_utils_aot.py:0:20
	v_mov_b32_e32 v45, 0
.LBB0_168:                              ;   in Loop: Header=BB0_4 Depth=1
	.loc	1 67 51 is_stmt 1               ; fp8_utils_aot.py:67:51
	v_readlane_b32 s8, v255, 2
	s_cmp_ge_i32 s8, s14
	.loc	1 67 20 is_stmt 0               ; fp8_utils_aot.py:67:20
	s_cbranch_scc1 .LBB0_170
; %bb.169:                              ;   in Loop: Header=BB0_4 Depth=1
	.loc	1 0 20                          ; fp8_utils_aot.py:0:20
	v_accvgpr_read_b32 v46, a112
	v_accvgpr_read_b32 v47, a113
	.loc	1 66 59 is_stmt 1               ; fp8_utils_aot.py:66:59
	v_lshl_add_u64 v[46:47], s[4:5], 0, v[46:47]
	.loc	1 67 20                         ; fp8_utils_aot.py:67:20
	global_load_ubyte v46, v[46:47], off
	s_branch .LBB0_171
.LBB0_170:                              ;   in Loop: Header=BB0_4 Depth=1
	.loc	1 0 20 is_stmt 0                ; fp8_utils_aot.py:0:20
	v_mov_b32_e32 v46, 0
.LBB0_171:                              ;   in Loop: Header=BB0_4 Depth=1
	.loc	1 67 51 is_stmt 1               ; fp8_utils_aot.py:67:51
	v_readlane_b32 s8, v255, 1
	s_cmp_ge_i32 s8, s14
	.loc	1 67 20 is_stmt 0               ; fp8_utils_aot.py:67:20
	s_cbranch_scc1 .LBB0_173
; %bb.172:                              ;   in Loop: Header=BB0_4 Depth=1
	.loc	1 0 20                          ; fp8_utils_aot.py:0:20
	v_accvgpr_read_b32 v48, a110
	v_accvgpr_read_b32 v49, a111
	.loc	1 66 59 is_stmt 1               ; fp8_utils_aot.py:66:59
	v_lshl_add_u64 v[48:49], s[4:5], 0, v[48:49]
	.loc	1 67 20                         ; fp8_utils_aot.py:67:20
	global_load_ubyte v47, v[48:49], off
	s_branch .LBB0_174
.LBB0_173:                              ;   in Loop: Header=BB0_4 Depth=1
	.loc	1 0 20 is_stmt 0                ; fp8_utils_aot.py:0:20
	v_mov_b32_e32 v47, 0
.LBB0_174:                              ;   in Loop: Header=BB0_4 Depth=1
	.loc	1 67 51 is_stmt 1               ; fp8_utils_aot.py:67:51
	v_readlane_b32 s8, v255, 0
	s_cmp_ge_i32 s8, s14
	.loc	1 67 20 is_stmt 0               ; fp8_utils_aot.py:67:20
	s_cbranch_scc1 .LBB0_176
; %bb.175:                              ;   in Loop: Header=BB0_4 Depth=1
	.loc	1 0 20                          ; fp8_utils_aot.py:0:20
	v_accvgpr_read_b32 v48, a108
	v_accvgpr_read_b32 v49, a109
	.loc	1 66 59 is_stmt 1               ; fp8_utils_aot.py:66:59
	v_lshl_add_u64 v[48:49], s[4:5], 0, v[48:49]
	.loc	1 67 20                         ; fp8_utils_aot.py:67:20
	global_load_ubyte v48, v[48:49], off
	s_branch .LBB0_177
.LBB0_176:                              ;   in Loop: Header=BB0_4 Depth=1
	.loc	1 0 20 is_stmt 0                ; fp8_utils_aot.py:0:20
	v_mov_b32_e32 v48, 0
.LBB0_177:                              ;   in Loop: Header=BB0_4 Depth=1
	.loc	1 67 51 is_stmt 1               ; fp8_utils_aot.py:67:51
	v_readlane_b32 s8, v254, 63
	s_cmp_ge_i32 s8, s14
	.loc	1 67 20 is_stmt 0               ; fp8_utils_aot.py:67:20
	s_cbranch_scc1 .LBB0_179
; %bb.178:                              ;   in Loop: Header=BB0_4 Depth=1
	.loc	1 0 20                          ; fp8_utils_aot.py:0:20
	v_accvgpr_read_b32 v50, a106
	v_accvgpr_read_b32 v51, a107
	.loc	1 66 59 is_stmt 1               ; fp8_utils_aot.py:66:59
	v_lshl_add_u64 v[50:51], s[4:5], 0, v[50:51]
	.loc	1 67 20                         ; fp8_utils_aot.py:67:20
	global_load_ubyte v49, v[50:51], off
	s_branch .LBB0_180
.LBB0_179:                              ;   in Loop: Header=BB0_4 Depth=1
	.loc	1 0 20 is_stmt 0                ; fp8_utils_aot.py:0:20
	v_mov_b32_e32 v49, 0
.LBB0_180:                              ;   in Loop: Header=BB0_4 Depth=1
	.loc	1 67 51 is_stmt 1               ; fp8_utils_aot.py:67:51
	v_readlane_b32 s8, v254, 62
	s_cmp_ge_i32 s8, s14
	.loc	1 67 20 is_stmt 0               ; fp8_utils_aot.py:67:20
	s_cbranch_scc1 .LBB0_182
; %bb.181:                              ;   in Loop: Header=BB0_4 Depth=1
	.loc	1 0 20                          ; fp8_utils_aot.py:0:20
	v_accvgpr_read_b32 v50, a104
	v_accvgpr_read_b32 v51, a105
	.loc	1 66 59 is_stmt 1               ; fp8_utils_aot.py:66:59
	v_lshl_add_u64 v[50:51], s[4:5], 0, v[50:51]
	.loc	1 67 20                         ; fp8_utils_aot.py:67:20
	global_load_ubyte v50, v[50:51], off
	s_branch .LBB0_183
.LBB0_182:                              ;   in Loop: Header=BB0_4 Depth=1
	.loc	1 0 20 is_stmt 0                ; fp8_utils_aot.py:0:20
	v_mov_b32_e32 v50, 0
.LBB0_183:                              ;   in Loop: Header=BB0_4 Depth=1
	.loc	1 67 51 is_stmt 1               ; fp8_utils_aot.py:67:51
	v_readlane_b32 s8, v254, 61
	s_cmp_ge_i32 s8, s14
	.loc	1 67 20 is_stmt 0               ; fp8_utils_aot.py:67:20
	s_cbranch_scc1 .LBB0_185
; %bb.184:                              ;   in Loop: Header=BB0_4 Depth=1
	.loc	1 0 20                          ; fp8_utils_aot.py:0:20
	v_accvgpr_read_b32 v52, a102
	v_accvgpr_read_b32 v53, a103
	.loc	1 66 59 is_stmt 1               ; fp8_utils_aot.py:66:59
	v_lshl_add_u64 v[52:53], s[4:5], 0, v[52:53]
	.loc	1 67 20                         ; fp8_utils_aot.py:67:20
	global_load_ubyte v51, v[52:53], off
	s_branch .LBB0_186
.LBB0_185:                              ;   in Loop: Header=BB0_4 Depth=1
	.loc	1 0 20 is_stmt 0                ; fp8_utils_aot.py:0:20
	v_mov_b32_e32 v51, 0
.LBB0_186:                              ;   in Loop: Header=BB0_4 Depth=1
	.loc	1 67 51 is_stmt 1               ; fp8_utils_aot.py:67:51
	v_readlane_b32 s8, v254, 60
	s_cmp_ge_i32 s8, s14
	.loc	1 67 20 is_stmt 0               ; fp8_utils_aot.py:67:20
	s_cbranch_scc1 .LBB0_188
; %bb.187:                              ;   in Loop: Header=BB0_4 Depth=1
	.loc	1 0 20                          ; fp8_utils_aot.py:0:20
	v_accvgpr_read_b32 v52, a100
	v_accvgpr_read_b32 v53, a101
	.loc	1 66 59 is_stmt 1               ; fp8_utils_aot.py:66:59
	v_lshl_add_u64 v[52:53], s[4:5], 0, v[52:53]
	.loc	1 67 20                         ; fp8_utils_aot.py:67:20
	global_load_ubyte v52, v[52:53], off
	s_branch .LBB0_189
.LBB0_188:                              ;   in Loop: Header=BB0_4 Depth=1
	.loc	1 0 20 is_stmt 0                ; fp8_utils_aot.py:0:20
	v_mov_b32_e32 v52, 0
.LBB0_189:                              ;   in Loop: Header=BB0_4 Depth=1
	.loc	1 67 51 is_stmt 1               ; fp8_utils_aot.py:67:51
	v_readlane_b32 s8, v254, 59
	s_cmp_ge_i32 s8, s14
	.loc	1 67 20 is_stmt 0               ; fp8_utils_aot.py:67:20
	s_cbranch_scc1 .LBB0_191
; %bb.190:                              ;   in Loop: Header=BB0_4 Depth=1
	.loc	1 0 20                          ; fp8_utils_aot.py:0:20
	v_accvgpr_read_b32 v54, a98
	v_accvgpr_read_b32 v55, a99
	.loc	1 66 59 is_stmt 1               ; fp8_utils_aot.py:66:59
	v_lshl_add_u64 v[54:55], s[4:5], 0, v[54:55]
	.loc	1 67 20                         ; fp8_utils_aot.py:67:20
	global_load_ubyte v53, v[54:55], off
	s_branch .LBB0_192
.LBB0_191:                              ;   in Loop: Header=BB0_4 Depth=1
	.loc	1 0 20 is_stmt 0                ; fp8_utils_aot.py:0:20
	v_mov_b32_e32 v53, 0
.LBB0_192:                              ;   in Loop: Header=BB0_4 Depth=1
	.loc	1 67 51 is_stmt 1               ; fp8_utils_aot.py:67:51
	v_readlane_b32 s8, v254, 58
	s_cmp_ge_i32 s8, s14
	.loc	1 67 20 is_stmt 0               ; fp8_utils_aot.py:67:20
	s_cbranch_scc1 .LBB0_194
; %bb.193:                              ;   in Loop: Header=BB0_4 Depth=1
	.loc	1 0 20                          ; fp8_utils_aot.py:0:20
	v_accvgpr_read_b32 v54, a96
	v_accvgpr_read_b32 v55, a97
	.loc	1 66 59 is_stmt 1               ; fp8_utils_aot.py:66:59
	v_lshl_add_u64 v[54:55], s[4:5], 0, v[54:55]
	.loc	1 67 20                         ; fp8_utils_aot.py:67:20
	global_load_ubyte v54, v[54:55], off
	s_branch .LBB0_195
.LBB0_194:                              ;   in Loop: Header=BB0_4 Depth=1
	.loc	1 0 20 is_stmt 0                ; fp8_utils_aot.py:0:20
	v_mov_b32_e32 v54, 0
.LBB0_195:                              ;   in Loop: Header=BB0_4 Depth=1
	.loc	1 67 51 is_stmt 1               ; fp8_utils_aot.py:67:51
	v_readlane_b32 s8, v254, 57
	s_cmp_ge_i32 s8, s14
	.loc	1 67 20 is_stmt 0               ; fp8_utils_aot.py:67:20
	s_cbranch_scc1 .LBB0_197
; %bb.196:                              ;   in Loop: Header=BB0_4 Depth=1
	.loc	1 0 20                          ; fp8_utils_aot.py:0:20
	v_accvgpr_read_b32 v56, a94
	v_accvgpr_read_b32 v57, a95
	.loc	1 66 59 is_stmt 1               ; fp8_utils_aot.py:66:59
	v_lshl_add_u64 v[56:57], s[4:5], 0, v[56:57]
	.loc	1 67 20                         ; fp8_utils_aot.py:67:20
	global_load_ubyte v55, v[56:57], off
	s_branch .LBB0_198
.LBB0_197:                              ;   in Loop: Header=BB0_4 Depth=1
	.loc	1 0 20 is_stmt 0                ; fp8_utils_aot.py:0:20
	v_mov_b32_e32 v55, 0
.LBB0_198:                              ;   in Loop: Header=BB0_4 Depth=1
	.loc	1 67 51 is_stmt 1               ; fp8_utils_aot.py:67:51
	v_readlane_b32 s8, v254, 56
	s_cmp_ge_i32 s8, s14
	.loc	1 67 20 is_stmt 0               ; fp8_utils_aot.py:67:20
	s_cbranch_scc1 .LBB0_200
; %bb.199:                              ;   in Loop: Header=BB0_4 Depth=1
	.loc	1 0 20                          ; fp8_utils_aot.py:0:20
	v_accvgpr_read_b32 v56, a92
	v_accvgpr_read_b32 v57, a93
	.loc	1 66 59 is_stmt 1               ; fp8_utils_aot.py:66:59
	v_lshl_add_u64 v[56:57], s[4:5], 0, v[56:57]
	.loc	1 67 20                         ; fp8_utils_aot.py:67:20
	global_load_ubyte v56, v[56:57], off
	s_branch .LBB0_201
.LBB0_200:                              ;   in Loop: Header=BB0_4 Depth=1
	.loc	1 0 20 is_stmt 0                ; fp8_utils_aot.py:0:20
	v_mov_b32_e32 v56, 0
.LBB0_201:                              ;   in Loop: Header=BB0_4 Depth=1
	.loc	1 67 51 is_stmt 1               ; fp8_utils_aot.py:67:51
	v_readlane_b32 s8, v254, 55
	s_cmp_ge_i32 s8, s14
	.loc	1 67 20 is_stmt 0               ; fp8_utils_aot.py:67:20
	s_cbranch_scc1 .LBB0_203
; %bb.202:                              ;   in Loop: Header=BB0_4 Depth=1
	.loc	1 0 20                          ; fp8_utils_aot.py:0:20
	v_accvgpr_read_b32 v58, a90
	v_accvgpr_read_b32 v59, a91
	.loc	1 66 59 is_stmt 1               ; fp8_utils_aot.py:66:59
	v_lshl_add_u64 v[58:59], s[4:5], 0, v[58:59]
	.loc	1 67 20                         ; fp8_utils_aot.py:67:20
	global_load_ubyte v57, v[58:59], off
	s_branch .LBB0_204
.LBB0_203:                              ;   in Loop: Header=BB0_4 Depth=1
	.loc	1 0 20 is_stmt 0                ; fp8_utils_aot.py:0:20
	v_mov_b32_e32 v57, 0
.LBB0_204:                              ;   in Loop: Header=BB0_4 Depth=1
	.loc	1 67 51 is_stmt 1               ; fp8_utils_aot.py:67:51
	v_readlane_b32 s8, v254, 54
	s_cmp_ge_i32 s8, s14
	.loc	1 67 20 is_stmt 0               ; fp8_utils_aot.py:67:20
	s_cbranch_scc1 .LBB0_206
; %bb.205:                              ;   in Loop: Header=BB0_4 Depth=1
	.loc	1 0 20                          ; fp8_utils_aot.py:0:20
	v_accvgpr_read_b32 v58, a88
	v_accvgpr_read_b32 v59, a89
	.loc	1 66 59 is_stmt 1               ; fp8_utils_aot.py:66:59
	v_lshl_add_u64 v[58:59], s[4:5], 0, v[58:59]
	.loc	1 67 20                         ; fp8_utils_aot.py:67:20
	global_load_ubyte v58, v[58:59], off
	s_branch .LBB0_207
.LBB0_206:                              ;   in Loop: Header=BB0_4 Depth=1
	.loc	1 0 20 is_stmt 0                ; fp8_utils_aot.py:0:20
	v_mov_b32_e32 v58, 0
.LBB0_207:                              ;   in Loop: Header=BB0_4 Depth=1
	.loc	1 67 51 is_stmt 1               ; fp8_utils_aot.py:67:51
	v_readlane_b32 s8, v254, 53
	s_cmp_ge_i32 s8, s14
	.loc	1 67 20 is_stmt 0               ; fp8_utils_aot.py:67:20
	s_cbranch_scc1 .LBB0_209
; %bb.208:                              ;   in Loop: Header=BB0_4 Depth=1
	.loc	1 0 20                          ; fp8_utils_aot.py:0:20
	v_accvgpr_read_b32 v60, a86
	v_accvgpr_read_b32 v61, a87
	.loc	1 66 59 is_stmt 1               ; fp8_utils_aot.py:66:59
	v_lshl_add_u64 v[60:61], s[4:5], 0, v[60:61]
	.loc	1 67 20                         ; fp8_utils_aot.py:67:20
	global_load_ubyte v59, v[60:61], off
	s_branch .LBB0_210
.LBB0_209:                              ;   in Loop: Header=BB0_4 Depth=1
	.loc	1 0 20 is_stmt 0                ; fp8_utils_aot.py:0:20
	v_mov_b32_e32 v59, 0
.LBB0_210:                              ;   in Loop: Header=BB0_4 Depth=1
	.loc	1 67 51 is_stmt 1               ; fp8_utils_aot.py:67:51
	v_readlane_b32 s8, v254, 52
	s_cmp_ge_i32 s8, s14
	.loc	1 67 20 is_stmt 0               ; fp8_utils_aot.py:67:20
	s_cbranch_scc1 .LBB0_212
; %bb.211:                              ;   in Loop: Header=BB0_4 Depth=1
	.loc	1 0 20                          ; fp8_utils_aot.py:0:20
	v_accvgpr_read_b32 v60, a84
	v_accvgpr_read_b32 v61, a85
	.loc	1 66 59 is_stmt 1               ; fp8_utils_aot.py:66:59
	v_lshl_add_u64 v[60:61], s[4:5], 0, v[60:61]
	.loc	1 67 20                         ; fp8_utils_aot.py:67:20
	global_load_ubyte v60, v[60:61], off
	s_branch .LBB0_213
.LBB0_212:                              ;   in Loop: Header=BB0_4 Depth=1
	.loc	1 0 20 is_stmt 0                ; fp8_utils_aot.py:0:20
	v_mov_b32_e32 v60, 0
.LBB0_213:                              ;   in Loop: Header=BB0_4 Depth=1
	.loc	1 67 51 is_stmt 1               ; fp8_utils_aot.py:67:51
	v_readlane_b32 s8, v254, 51
	s_cmp_ge_i32 s8, s14
	.loc	1 67 20 is_stmt 0               ; fp8_utils_aot.py:67:20
	s_cbranch_scc1 .LBB0_215
; %bb.214:                              ;   in Loop: Header=BB0_4 Depth=1
	.loc	1 0 20                          ; fp8_utils_aot.py:0:20
	v_accvgpr_read_b32 v62, a82
	v_accvgpr_read_b32 v63, a83
	.loc	1 66 59 is_stmt 1               ; fp8_utils_aot.py:66:59
	v_lshl_add_u64 v[62:63], s[4:5], 0, v[62:63]
	.loc	1 67 20                         ; fp8_utils_aot.py:67:20
	global_load_ubyte v61, v[62:63], off
	s_branch .LBB0_216
.LBB0_215:                              ;   in Loop: Header=BB0_4 Depth=1
	.loc	1 0 20 is_stmt 0                ; fp8_utils_aot.py:0:20
	v_mov_b32_e32 v61, 0
.LBB0_216:                              ;   in Loop: Header=BB0_4 Depth=1
	.loc	1 67 51 is_stmt 1               ; fp8_utils_aot.py:67:51
	v_readlane_b32 s8, v254, 50
	s_cmp_ge_i32 s8, s14
	.loc	1 67 20 is_stmt 0               ; fp8_utils_aot.py:67:20
	s_cbranch_scc1 .LBB0_218
; %bb.217:                              ;   in Loop: Header=BB0_4 Depth=1
	.loc	1 0 20                          ; fp8_utils_aot.py:0:20
	v_accvgpr_read_b32 v62, a80
	v_accvgpr_read_b32 v63, a81
	.loc	1 66 59 is_stmt 1               ; fp8_utils_aot.py:66:59
	v_lshl_add_u64 v[62:63], s[4:5], 0, v[62:63]
	.loc	1 67 20                         ; fp8_utils_aot.py:67:20
	global_load_ubyte v62, v[62:63], off
	s_branch .LBB0_219
.LBB0_218:                              ;   in Loop: Header=BB0_4 Depth=1
	.loc	1 0 20 is_stmt 0                ; fp8_utils_aot.py:0:20
	v_mov_b32_e32 v62, 0
.LBB0_219:                              ;   in Loop: Header=BB0_4 Depth=1
	.loc	1 67 51 is_stmt 1               ; fp8_utils_aot.py:67:51
	v_readlane_b32 s8, v254, 49
	s_cmp_ge_i32 s8, s14
	.loc	1 67 20 is_stmt 0               ; fp8_utils_aot.py:67:20
	s_cbranch_scc1 .LBB0_221
; %bb.220:                              ;   in Loop: Header=BB0_4 Depth=1
	.loc	1 0 20                          ; fp8_utils_aot.py:0:20
	v_accvgpr_read_b32 v64, a78
	v_accvgpr_read_b32 v65, a79
	.loc	1 66 59 is_stmt 1               ; fp8_utils_aot.py:66:59
	v_lshl_add_u64 v[64:65], s[4:5], 0, v[64:65]
	.loc	1 67 20                         ; fp8_utils_aot.py:67:20
	global_load_ubyte v63, v[64:65], off
	s_branch .LBB0_222
.LBB0_221:                              ;   in Loop: Header=BB0_4 Depth=1
	.loc	1 0 20 is_stmt 0                ; fp8_utils_aot.py:0:20
	v_mov_b32_e32 v63, 0
.LBB0_222:                              ;   in Loop: Header=BB0_4 Depth=1
	.loc	1 67 51 is_stmt 1               ; fp8_utils_aot.py:67:51
	v_readlane_b32 s8, v254, 48
	s_cmp_ge_i32 s8, s14
	.loc	1 67 20 is_stmt 0               ; fp8_utils_aot.py:67:20
	s_cbranch_scc1 .LBB0_224
; %bb.223:                              ;   in Loop: Header=BB0_4 Depth=1
	.loc	1 0 20                          ; fp8_utils_aot.py:0:20
	v_accvgpr_read_b32 v64, a76
	v_accvgpr_read_b32 v65, a77
	.loc	1 66 59 is_stmt 1               ; fp8_utils_aot.py:66:59
	v_lshl_add_u64 v[64:65], s[4:5], 0, v[64:65]
	.loc	1 67 20                         ; fp8_utils_aot.py:67:20
	global_load_ubyte v64, v[64:65], off
	s_branch .LBB0_225
.LBB0_224:                              ;   in Loop: Header=BB0_4 Depth=1
	.loc	1 0 20 is_stmt 0                ; fp8_utils_aot.py:0:20
	v_mov_b32_e32 v64, 0
.LBB0_225:                              ;   in Loop: Header=BB0_4 Depth=1
	.loc	1 67 51 is_stmt 1               ; fp8_utils_aot.py:67:51
	v_readlane_b32 s8, v254, 47
	s_cmp_ge_i32 s8, s14
	.loc	1 67 20 is_stmt 0               ; fp8_utils_aot.py:67:20
	s_cbranch_scc1 .LBB0_227
; %bb.226:                              ;   in Loop: Header=BB0_4 Depth=1
	.loc	1 0 20                          ; fp8_utils_aot.py:0:20
	v_accvgpr_read_b32 v72, a74
	v_accvgpr_read_b32 v73, a75
	.loc	1 66 59 is_stmt 1               ; fp8_utils_aot.py:66:59
	v_lshl_add_u64 v[72:73], s[4:5], 0, v[72:73]
	.loc	1 67 20                         ; fp8_utils_aot.py:67:20
	global_load_ubyte v65, v[72:73], off
	s_branch .LBB0_228
.LBB0_227:                              ;   in Loop: Header=BB0_4 Depth=1
	.loc	1 0 20 is_stmt 0                ; fp8_utils_aot.py:0:20
	v_mov_b32_e32 v65, 0
.LBB0_228:                              ;   in Loop: Header=BB0_4 Depth=1
	.loc	1 67 51 is_stmt 1               ; fp8_utils_aot.py:67:51
	v_readlane_b32 s8, v254, 46
	s_cmp_ge_i32 s8, s14
	.loc	1 67 20 is_stmt 0               ; fp8_utils_aot.py:67:20
	s_cbranch_scc1 .LBB0_230
; %bb.229:                              ;   in Loop: Header=BB0_4 Depth=1
	.loc	1 0 20                          ; fp8_utils_aot.py:0:20
	v_accvgpr_read_b32 v72, a72
	v_accvgpr_read_b32 v73, a73
	.loc	1 66 59 is_stmt 1               ; fp8_utils_aot.py:66:59
	v_lshl_add_u64 v[72:73], s[4:5], 0, v[72:73]
	.loc	1 67 20                         ; fp8_utils_aot.py:67:20
	global_load_ubyte v72, v[72:73], off
	s_branch .LBB0_231
.LBB0_230:                              ;   in Loop: Header=BB0_4 Depth=1
	.loc	1 0 20 is_stmt 0                ; fp8_utils_aot.py:0:20
	v_mov_b32_e32 v72, 0
.LBB0_231:                              ;   in Loop: Header=BB0_4 Depth=1
	.loc	1 67 51 is_stmt 1               ; fp8_utils_aot.py:67:51
	v_readlane_b32 s8, v254, 45
	s_cmp_ge_i32 s8, s14
	.loc	1 67 20 is_stmt 0               ; fp8_utils_aot.py:67:20
	s_cbranch_scc1 .LBB0_233
; %bb.232:                              ;   in Loop: Header=BB0_4 Depth=1
	.loc	1 0 20                          ; fp8_utils_aot.py:0:20
	v_accvgpr_read_b32 v75, a71
	v_accvgpr_read_b32 v74, a70
	.loc	1 66 59 is_stmt 1               ; fp8_utils_aot.py:66:59
	v_lshl_add_u64 v[74:75], s[4:5], 0, v[74:75]
	.loc	1 67 20                         ; fp8_utils_aot.py:67:20
	global_load_ubyte v73, v[74:75], off
	s_branch .LBB0_234
.LBB0_233:                              ;   in Loop: Header=BB0_4 Depth=1
	.loc	1 0 20 is_stmt 0                ; fp8_utils_aot.py:0:20
	v_mov_b32_e32 v73, 0
.LBB0_234:                              ;   in Loop: Header=BB0_4 Depth=1
	.loc	1 67 51 is_stmt 1               ; fp8_utils_aot.py:67:51
	v_readlane_b32 s8, v254, 44
	s_cmp_ge_i32 s8, s14
	.loc	1 67 20 is_stmt 0               ; fp8_utils_aot.py:67:20
	s_cbranch_scc1 .LBB0_236
; %bb.235:                              ;   in Loop: Header=BB0_4 Depth=1
	.loc	1 0 20                          ; fp8_utils_aot.py:0:20
	v_accvgpr_read_b32 v75, a69
	v_accvgpr_read_b32 v74, a68
	.loc	1 66 59 is_stmt 1               ; fp8_utils_aot.py:66:59
	v_lshl_add_u64 v[74:75], s[4:5], 0, v[74:75]
	.loc	1 67 20                         ; fp8_utils_aot.py:67:20
	global_load_ubyte v74, v[74:75], off
	s_branch .LBB0_237
.LBB0_236:                              ;   in Loop: Header=BB0_4 Depth=1
	.loc	1 0 20 is_stmt 0                ; fp8_utils_aot.py:0:20
	v_mov_b32_e32 v74, 0
.LBB0_237:                              ;   in Loop: Header=BB0_4 Depth=1
	.loc	1 67 51 is_stmt 1               ; fp8_utils_aot.py:67:51
	v_readlane_b32 s8, v254, 43
	s_cmp_ge_i32 s8, s14
	.loc	1 67 20 is_stmt 0               ; fp8_utils_aot.py:67:20
	s_cbranch_scc1 .LBB0_239
; %bb.238:                              ;   in Loop: Header=BB0_4 Depth=1
	.loc	1 0 20                          ; fp8_utils_aot.py:0:20
	v_accvgpr_read_b32 v79, a67
	v_accvgpr_read_b32 v78, a66
	.loc	1 66 59 is_stmt 1               ; fp8_utils_aot.py:66:59
	v_lshl_add_u64 v[78:79], s[4:5], 0, v[78:79]
	.loc	1 67 20                         ; fp8_utils_aot.py:67:20
	global_load_ubyte v75, v[78:79], off
	s_branch .LBB0_240
.LBB0_239:                              ;   in Loop: Header=BB0_4 Depth=1
	.loc	1 0 20 is_stmt 0                ; fp8_utils_aot.py:0:20
	v_mov_b32_e32 v75, 0
.LBB0_240:                              ;   in Loop: Header=BB0_4 Depth=1
	.loc	1 67 51 is_stmt 1               ; fp8_utils_aot.py:67:51
	v_readlane_b32 s8, v254, 42
	s_cmp_ge_i32 s8, s14
	.loc	1 67 20 is_stmt 0               ; fp8_utils_aot.py:67:20
	s_cbranch_scc1 .LBB0_242
; %bb.241:                              ;   in Loop: Header=BB0_4 Depth=1
	.loc	1 0 20                          ; fp8_utils_aot.py:0:20
	v_accvgpr_read_b32 v79, a65
	v_accvgpr_read_b32 v78, a64
	.loc	1 66 59 is_stmt 1               ; fp8_utils_aot.py:66:59
	v_lshl_add_u64 v[78:79], s[4:5], 0, v[78:79]
	.loc	1 67 20                         ; fp8_utils_aot.py:67:20
	global_load_ubyte v78, v[78:79], off
	s_branch .LBB0_243
.LBB0_242:                              ;   in Loop: Header=BB0_4 Depth=1
	.loc	1 0 20 is_stmt 0                ; fp8_utils_aot.py:0:20
	v_mov_b32_e32 v78, 0
.LBB0_243:                              ;   in Loop: Header=BB0_4 Depth=1
	.loc	1 67 51 is_stmt 1               ; fp8_utils_aot.py:67:51
	v_readlane_b32 s8, v254, 41
	s_cmp_ge_i32 s8, s14
	.loc	1 67 20 is_stmt 0               ; fp8_utils_aot.py:67:20
	s_cbranch_scc1 .LBB0_245
; %bb.244:                              ;   in Loop: Header=BB0_4 Depth=1
	.loc	1 0 20                          ; fp8_utils_aot.py:0:20
	v_accvgpr_read_b32 v81, a63
	v_accvgpr_read_b32 v80, a62
	.loc	1 66 59 is_stmt 1               ; fp8_utils_aot.py:66:59
	v_lshl_add_u64 v[80:81], s[4:5], 0, v[80:81]
	.loc	1 67 20                         ; fp8_utils_aot.py:67:20
	global_load_ubyte v79, v[80:81], off
	s_branch .LBB0_246
.LBB0_245:                              ;   in Loop: Header=BB0_4 Depth=1
	.loc	1 0 20 is_stmt 0                ; fp8_utils_aot.py:0:20
	v_mov_b32_e32 v79, 0
.LBB0_246:                              ;   in Loop: Header=BB0_4 Depth=1
	.loc	1 67 51 is_stmt 1               ; fp8_utils_aot.py:67:51
	v_readlane_b32 s8, v254, 40
	s_cmp_ge_i32 s8, s14
	.loc	1 67 20 is_stmt 0               ; fp8_utils_aot.py:67:20
	s_cbranch_scc1 .LBB0_248
; %bb.247:                              ;   in Loop: Header=BB0_4 Depth=1
	.loc	1 0 20                          ; fp8_utils_aot.py:0:20
	v_accvgpr_read_b32 v81, a61
	v_accvgpr_read_b32 v80, a60
	.loc	1 66 59 is_stmt 1               ; fp8_utils_aot.py:66:59
	v_lshl_add_u64 v[80:81], s[4:5], 0, v[80:81]
	.loc	1 67 20                         ; fp8_utils_aot.py:67:20
	global_load_ubyte v80, v[80:81], off
	s_branch .LBB0_249
.LBB0_248:                              ;   in Loop: Header=BB0_4 Depth=1
	.loc	1 0 20 is_stmt 0                ; fp8_utils_aot.py:0:20
	v_mov_b32_e32 v80, 0
.LBB0_249:                              ;   in Loop: Header=BB0_4 Depth=1
	.loc	1 67 51 is_stmt 1               ; fp8_utils_aot.py:67:51
	v_readlane_b32 s8, v254, 39
	s_cmp_ge_i32 s8, s14
	.loc	1 67 20 is_stmt 0               ; fp8_utils_aot.py:67:20
	s_cbranch_scc1 .LBB0_251
; %bb.250:                              ;   in Loop: Header=BB0_4 Depth=1
	.loc	1 0 20                          ; fp8_utils_aot.py:0:20
	v_accvgpr_read_b32 v87, a59
	v_accvgpr_read_b32 v86, a58
	.loc	1 66 59 is_stmt 1               ; fp8_utils_aot.py:66:59
	v_lshl_add_u64 v[86:87], s[4:5], 0, v[86:87]
	.loc	1 67 20                         ; fp8_utils_aot.py:67:20
	global_load_ubyte v81, v[86:87], off
	s_branch .LBB0_252
.LBB0_251:                              ;   in Loop: Header=BB0_4 Depth=1
	.loc	1 0 20 is_stmt 0                ; fp8_utils_aot.py:0:20
	v_mov_b32_e32 v81, 0
.LBB0_252:                              ;   in Loop: Header=BB0_4 Depth=1
	.loc	1 67 51 is_stmt 1               ; fp8_utils_aot.py:67:51
	v_readlane_b32 s8, v254, 38
	s_cmp_ge_i32 s8, s14
	.loc	1 67 20 is_stmt 0               ; fp8_utils_aot.py:67:20
	s_cbranch_scc1 .LBB0_254
; %bb.253:                              ;   in Loop: Header=BB0_4 Depth=1
	.loc	1 0 20                          ; fp8_utils_aot.py:0:20
	v_accvgpr_read_b32 v87, a57
	v_accvgpr_read_b32 v86, a56
	.loc	1 66 59 is_stmt 1               ; fp8_utils_aot.py:66:59
	v_lshl_add_u64 v[86:87], s[4:5], 0, v[86:87]
	.loc	1 67 20                         ; fp8_utils_aot.py:67:20
	global_load_ubyte v86, v[86:87], off
	s_branch .LBB0_255
.LBB0_254:                              ;   in Loop: Header=BB0_4 Depth=1
	.loc	1 0 20 is_stmt 0                ; fp8_utils_aot.py:0:20
	v_mov_b32_e32 v86, 0
.LBB0_255:                              ;   in Loop: Header=BB0_4 Depth=1
	.loc	1 67 51 is_stmt 1               ; fp8_utils_aot.py:67:51
	v_readlane_b32 s8, v254, 37
	s_cmp_ge_i32 s8, s14
	.loc	1 67 20 is_stmt 0               ; fp8_utils_aot.py:67:20
	s_cbranch_scc0 .LBB0_2
; %bb.256:                              ;   in Loop: Header=BB0_4 Depth=1
	.loc	1 0 20                          ; fp8_utils_aot.py:0:20
	v_mov_b32_e32 v90, 0
	.loc	1 67 20                         ; fp8_utils_aot.py:67:20
	s_branch .LBB0_3
.LBB0_257:                              ; %Flow
	.loc	1 0 20                          ; fp8_utils_aot.py:0:20
	v_readlane_b32 s58, v254, 4
	v_readlane_b32 s12, v254, 3
	;; [unrolled: 1-line block ×3, first 2 shown]
	v_accvgpr_read_b32 v36, a9
	v_accvgpr_read_b32 v8, a16
.LBB0_258:                              ; %Flow839
	s_load_dwordx2 s[40:41], s[58:59], 0x4c
	v_readlane_b32 s42, v254, 0
	v_readlane_b32 s43, v254, 1
	;; [unrolled: 1-line block ×3, first 2 shown]
	.loc	1 88 33 is_stmt 1               ; fp8_utils_aot.py:88:33
	v_cmp_gt_i32_e64 s[38:39], s12, v8
	.loc	1 87 29                         ; fp8_utils_aot.py:87:29
	s_waitcnt lgkmcnt(0)
	v_mul_lo_u32 v0, v8, s40
	.loc	1 87 17 is_stmt 0               ; fp8_utils_aot.py:87:17
	v_ashrrev_i32_e32 v1, 31, v0
	v_lshl_add_u64 v[10:11], v[0:1], 1, s[42:43]
	.loc	1 87 60                         ; fp8_utils_aot.py:87:60
	v_mul_lo_u32 v0, v188, s41
	.loc	1 88 58 is_stmt 1               ; fp8_utils_aot.py:88:58
	v_cmp_gt_i32_e64 s[0:1], s13, v188
	.loc	1 87 48                         ; fp8_utils_aot.py:87:48
	v_ashrrev_i32_e32 v1, 31, v0
	.loc	1 88 39                         ; fp8_utils_aot.py:88:39
	s_and_b64 s[4:5], s[38:39], s[0:1]
	.loc	1 89 21                         ; fp8_utils_aot.py:89:21
	s_and_saveexec_b64 s[2:3], s[4:5]
	s_cbranch_execz .LBB0_260
; %bb.259:
	.loc	1 79 27                         ; fp8_utils_aot.py:79:27
	v_bfe_u32 v2, v84, 16, 1
	s_movk_i32 s4, 0x7fff
	v_add3_u32 v2, v84, v2, s4
	v_cmp_o_f32_e32 vcc, v84, v84
	v_mov_b32_e32 v3, 0x7fff
	s_nop 0
	v_cndmask_b32_sdwa v4, v3, v2, vcc dst_sel:DWORD dst_unused:UNUSED_PAD src0_sel:DWORD src1_sel:WORD_1
	.loc	1 87 48                         ; fp8_utils_aot.py:87:48
	v_lshl_add_u64 v[2:3], v[0:1], 1, v[10:11]
	.loc	1 89 21                         ; fp8_utils_aot.py:89:21
	global_store_short v[2:3], v4, off
.LBB0_260:
	.loc	1 0 21 is_stmt 0                ; fp8_utils_aot.py:0:21
	s_or_b64 exec, exec, s[2:3]
	v_accvgpr_read_b32 v4, a15
	.loc	1 87 60 is_stmt 1               ; fp8_utils_aot.py:87:60
	v_mul_lo_u32 v2, v4, s41
	.loc	1 88 58                         ; fp8_utils_aot.py:88:58
	v_cmp_gt_i32_e64 s[2:3], s13, v4
	.loc	1 87 48                         ; fp8_utils_aot.py:87:48
	v_ashrrev_i32_e32 v3, 31, v2
	.loc	1 88 39                         ; fp8_utils_aot.py:88:39
	s_and_b64 s[6:7], s[38:39], s[2:3]
	.loc	1 89 21                         ; fp8_utils_aot.py:89:21
	s_and_saveexec_b64 s[4:5], s[6:7]
	s_cbranch_execz .LBB0_262
; %bb.261:
	.loc	1 79 27                         ; fp8_utils_aot.py:79:27
	v_bfe_u32 v4, v85, 16, 1
	s_movk_i32 s6, 0x7fff
	v_add3_u32 v4, v85, v4, s6
	v_cmp_o_f32_e32 vcc, v85, v85
	v_mov_b32_e32 v5, 0x7fff
	s_nop 0
	v_cndmask_b32_sdwa v6, v5, v4, vcc dst_sel:DWORD dst_unused:UNUSED_PAD src0_sel:DWORD src1_sel:WORD_1
	.loc	1 87 48                         ; fp8_utils_aot.py:87:48
	v_lshl_add_u64 v[4:5], v[2:3], 1, v[10:11]
	.loc	1 89 21                         ; fp8_utils_aot.py:89:21
	global_store_short v[4:5], v6, off
.LBB0_262:
	.loc	1 0 21 is_stmt 0                ; fp8_utils_aot.py:0:21
	s_or_b64 exec, exec, s[4:5]
	v_accvgpr_read_b32 v6, a14
	.loc	1 87 60 is_stmt 1               ; fp8_utils_aot.py:87:60
	v_mul_lo_u32 v4, v6, s41
	.loc	1 88 58                         ; fp8_utils_aot.py:88:58
	;; [unrolled: 28-line block ×15, first 2 shown]
	v_cmp_gt_i32_e64 s[36:37], s13, v34
	.loc	1 87 48                         ; fp8_utils_aot.py:87:48
	v_ashrrev_i32_e32 v33, 31, v32
	.loc	1 88 39                         ; fp8_utils_aot.py:88:39
	s_and_b64 s[6:7], s[38:39], s[36:37]
	.loc	1 89 21                         ; fp8_utils_aot.py:89:21
	s_and_saveexec_b64 s[38:39], s[6:7]
	s_cbranch_execz .LBB0_290
; %bb.289:
	.loc	1 79 27                         ; fp8_utils_aot.py:79:27
	v_bfe_u32 v34, v239, 16, 1
	s_movk_i32 s6, 0x7fff
	v_add3_u32 v34, v239, v34, s6
	v_cmp_o_f32_e32 vcc, v239, v239
	v_mov_b32_e32 v35, 0x7fff
	.loc	1 87 48                         ; fp8_utils_aot.py:87:48
	v_lshl_add_u64 v[10:11], v[32:33], 1, v[10:11]
	.loc	1 79 27                         ; fp8_utils_aot.py:79:27
	v_cndmask_b32_sdwa v34, v35, v34, vcc dst_sel:DWORD dst_unused:UNUSED_PAD src0_sel:DWORD src1_sel:WORD_1
	.loc	1 89 21                         ; fp8_utils_aot.py:89:21
	global_store_short v[10:11], v34, off
.LBB0_290:
	.loc	1 0 21 is_stmt 0                ; fp8_utils_aot.py:0:21
	s_or_b64 exec, exec, s[38:39]
	.loc	1 87 29 is_stmt 1               ; fp8_utils_aot.py:87:29
	v_mul_lo_u32 v10, s40, v36
	.loc	1 87 17 is_stmt 0               ; fp8_utils_aot.py:87:17
	v_ashrrev_i32_e32 v11, 31, v10
	.loc	1 88 33 is_stmt 1               ; fp8_utils_aot.py:88:33
	v_cmp_gt_i32_e64 s[6:7], s12, v36
	.loc	1 87 17                         ; fp8_utils_aot.py:87:17
	v_lshl_add_u64 v[10:11], v[10:11], 1, s[42:43]
	.loc	1 88 39                         ; fp8_utils_aot.py:88:39
	s_and_b64 s[12:13], s[6:7], s[0:1]
	.loc	1 89 21                         ; fp8_utils_aot.py:89:21
	s_and_saveexec_b64 s[0:1], s[12:13]
	s_cbranch_execnz .LBB0_307
; %bb.291:
	.loc	1 0 21 is_stmt 0                ; fp8_utils_aot.py:0:21
	s_or_b64 exec, exec, s[0:1]
	.loc	1 88 39 is_stmt 1               ; fp8_utils_aot.py:88:39
	s_and_b64 s[2:3], s[6:7], s[2:3]
	.loc	1 89 21                         ; fp8_utils_aot.py:89:21
	s_and_saveexec_b64 s[0:1], s[2:3]
	s_cbranch_execnz .LBB0_308
.LBB0_292:
	.loc	1 0 21 is_stmt 0                ; fp8_utils_aot.py:0:21
	s_or_b64 exec, exec, s[0:1]
	.loc	1 88 39 is_stmt 1               ; fp8_utils_aot.py:88:39
	s_and_b64 s[2:3], s[6:7], s[4:5]
	.loc	1 89 21                         ; fp8_utils_aot.py:89:21
	s_and_saveexec_b64 s[0:1], s[2:3]
	s_cbranch_execnz .LBB0_309
.LBB0_293:
	.loc	1 0 21 is_stmt 0                ; fp8_utils_aot.py:0:21
	s_or_b64 exec, exec, s[0:1]
	.loc	1 88 39 is_stmt 1               ; fp8_utils_aot.py:88:39
	s_and_b64 s[2:3], s[6:7], s[8:9]
	.loc	1 89 21                         ; fp8_utils_aot.py:89:21
	s_and_saveexec_b64 s[0:1], s[2:3]
	s_cbranch_execnz .LBB0_310
.LBB0_294:
	.loc	1 0 21 is_stmt 0                ; fp8_utils_aot.py:0:21
	s_or_b64 exec, exec, s[0:1]
	.loc	1 88 39 is_stmt 1               ; fp8_utils_aot.py:88:39
	s_and_b64 s[2:3], s[6:7], s[10:11]
	.loc	1 89 21                         ; fp8_utils_aot.py:89:21
	s_and_saveexec_b64 s[0:1], s[2:3]
	s_cbranch_execnz .LBB0_311
.LBB0_295:
	.loc	1 0 21 is_stmt 0                ; fp8_utils_aot.py:0:21
	s_or_b64 exec, exec, s[0:1]
	.loc	1 88 39 is_stmt 1               ; fp8_utils_aot.py:88:39
	s_and_b64 s[2:3], s[6:7], s[14:15]
	.loc	1 89 21                         ; fp8_utils_aot.py:89:21
	s_and_saveexec_b64 s[0:1], s[2:3]
	s_cbranch_execnz .LBB0_312
.LBB0_296:
	.loc	1 0 21 is_stmt 0                ; fp8_utils_aot.py:0:21
	s_or_b64 exec, exec, s[0:1]
	.loc	1 88 39 is_stmt 1               ; fp8_utils_aot.py:88:39
	s_and_b64 s[2:3], s[6:7], s[16:17]
	.loc	1 89 21                         ; fp8_utils_aot.py:89:21
	s_and_saveexec_b64 s[0:1], s[2:3]
	s_cbranch_execnz .LBB0_313
.LBB0_297:
	.loc	1 0 21 is_stmt 0                ; fp8_utils_aot.py:0:21
	s_or_b64 exec, exec, s[0:1]
	.loc	1 88 39 is_stmt 1               ; fp8_utils_aot.py:88:39
	s_and_b64 s[2:3], s[6:7], s[18:19]
	.loc	1 89 21                         ; fp8_utils_aot.py:89:21
	s_and_saveexec_b64 s[0:1], s[2:3]
	s_cbranch_execnz .LBB0_314
.LBB0_298:
	.loc	1 0 21 is_stmt 0                ; fp8_utils_aot.py:0:21
	s_or_b64 exec, exec, s[0:1]
	.loc	1 88 39 is_stmt 1               ; fp8_utils_aot.py:88:39
	s_and_b64 s[2:3], s[6:7], s[20:21]
	.loc	1 89 21                         ; fp8_utils_aot.py:89:21
	s_and_saveexec_b64 s[0:1], s[2:3]
	s_cbranch_execnz .LBB0_315
.LBB0_299:
	.loc	1 0 21 is_stmt 0                ; fp8_utils_aot.py:0:21
	s_or_b64 exec, exec, s[0:1]
	.loc	1 88 39 is_stmt 1               ; fp8_utils_aot.py:88:39
	s_and_b64 s[2:3], s[6:7], s[22:23]
	.loc	1 89 21                         ; fp8_utils_aot.py:89:21
	s_and_saveexec_b64 s[0:1], s[2:3]
	s_cbranch_execnz .LBB0_316
.LBB0_300:
	.loc	1 0 21 is_stmt 0                ; fp8_utils_aot.py:0:21
	s_or_b64 exec, exec, s[0:1]
	.loc	1 88 39 is_stmt 1               ; fp8_utils_aot.py:88:39
	s_and_b64 s[2:3], s[6:7], s[24:25]
	.loc	1 89 21                         ; fp8_utils_aot.py:89:21
	s_and_saveexec_b64 s[0:1], s[2:3]
	s_cbranch_execnz .LBB0_317
.LBB0_301:
	.loc	1 0 21 is_stmt 0                ; fp8_utils_aot.py:0:21
	s_or_b64 exec, exec, s[0:1]
	.loc	1 88 39 is_stmt 1               ; fp8_utils_aot.py:88:39
	s_and_b64 s[2:3], s[6:7], s[26:27]
	.loc	1 89 21                         ; fp8_utils_aot.py:89:21
	s_and_saveexec_b64 s[0:1], s[2:3]
	s_cbranch_execnz .LBB0_318
.LBB0_302:
	.loc	1 0 21 is_stmt 0                ; fp8_utils_aot.py:0:21
	s_or_b64 exec, exec, s[0:1]
	.loc	1 88 39 is_stmt 1               ; fp8_utils_aot.py:88:39
	s_and_b64 s[2:3], s[6:7], s[28:29]
	.loc	1 89 21                         ; fp8_utils_aot.py:89:21
	s_and_saveexec_b64 s[0:1], s[2:3]
	s_cbranch_execnz .LBB0_319
.LBB0_303:
	.loc	1 0 21 is_stmt 0                ; fp8_utils_aot.py:0:21
	s_or_b64 exec, exec, s[0:1]
	.loc	1 88 39 is_stmt 1               ; fp8_utils_aot.py:88:39
	s_and_b64 s[2:3], s[6:7], s[30:31]
	.loc	1 89 21                         ; fp8_utils_aot.py:89:21
	s_and_saveexec_b64 s[0:1], s[2:3]
	s_cbranch_execnz .LBB0_320
.LBB0_304:
	.loc	1 0 21 is_stmt 0                ; fp8_utils_aot.py:0:21
	s_or_b64 exec, exec, s[0:1]
	.loc	1 88 39 is_stmt 1               ; fp8_utils_aot.py:88:39
	s_and_b64 s[2:3], s[6:7], s[34:35]
	.loc	1 89 21                         ; fp8_utils_aot.py:89:21
	s_and_saveexec_b64 s[0:1], s[2:3]
	s_cbranch_execnz .LBB0_321
.LBB0_305:
	.loc	1 0 21 is_stmt 0                ; fp8_utils_aot.py:0:21
	s_or_b64 exec, exec, s[0:1]
	.loc	1 88 39 is_stmt 1               ; fp8_utils_aot.py:88:39
	s_and_b64 s[0:1], s[6:7], s[36:37]
	.loc	1 89 21                         ; fp8_utils_aot.py:89:21
	s_and_saveexec_b64 s[2:3], s[0:1]
	s_cbranch_execnz .LBB0_322
.LBB0_306:
	.loc	1 89 4 is_stmt 0                ; fp8_utils_aot.py:89:4
	s_endpgm
.LBB0_307:
	.loc	1 79 27 is_stmt 1               ; fp8_utils_aot.py:79:27
	v_bfe_u32 v34, v234, 16, 1
	s_movk_i32 s12, 0x7fff
	v_add3_u32 v34, v234, v34, s12
	v_cmp_o_f32_e32 vcc, v234, v234
	v_mov_b32_e32 v35, 0x7fff
	.loc	1 87 48                         ; fp8_utils_aot.py:87:48
	v_lshl_add_u64 v[0:1], v[0:1], 1, v[10:11]
	.loc	1 79 27                         ; fp8_utils_aot.py:79:27
	v_cndmask_b32_sdwa v34, v35, v34, vcc dst_sel:DWORD dst_unused:UNUSED_PAD src0_sel:DWORD src1_sel:WORD_1
	.loc	1 89 21                         ; fp8_utils_aot.py:89:21
	global_store_short v[0:1], v34, off
	s_or_b64 exec, exec, s[0:1]
	.loc	1 88 39                         ; fp8_utils_aot.py:88:39
	s_and_b64 s[2:3], s[6:7], s[2:3]
	.loc	1 89 21                         ; fp8_utils_aot.py:89:21
	s_and_saveexec_b64 s[0:1], s[2:3]
	s_cbranch_execz .LBB0_292
.LBB0_308:
	.loc	1 79 27                         ; fp8_utils_aot.py:79:27
	v_bfe_u32 v0, v235, 16, 1
	s_movk_i32 s2, 0x7fff
	v_add3_u32 v0, v235, v0, s2
	v_cmp_o_f32_e32 vcc, v235, v235
	v_mov_b32_e32 v1, 0x7fff
	s_nop 0
	v_cndmask_b32_sdwa v34, v1, v0, vcc dst_sel:DWORD dst_unused:UNUSED_PAD src0_sel:DWORD src1_sel:WORD_1
	.loc	1 87 48                         ; fp8_utils_aot.py:87:48
	v_lshl_add_u64 v[0:1], v[2:3], 1, v[10:11]
	.loc	1 89 21                         ; fp8_utils_aot.py:89:21
	global_store_short v[0:1], v34, off
	s_or_b64 exec, exec, s[0:1]
	.loc	1 88 39                         ; fp8_utils_aot.py:88:39
	s_and_b64 s[2:3], s[6:7], s[4:5]
	.loc	1 89 21                         ; fp8_utils_aot.py:89:21
	s_and_saveexec_b64 s[0:1], s[2:3]
	s_cbranch_execz .LBB0_293
.LBB0_309:
	.loc	1 79 27                         ; fp8_utils_aot.py:79:27
	v_bfe_u32 v0, v222, 16, 1
	s_movk_i32 s2, 0x7fff
	v_add3_u32 v0, v222, v0, s2
	v_cmp_o_f32_e32 vcc, v222, v222
	v_mov_b32_e32 v1, 0x7fff
	s_nop 0
	v_cndmask_b32_sdwa v2, v1, v0, vcc dst_sel:DWORD dst_unused:UNUSED_PAD src0_sel:DWORD src1_sel:WORD_1
	.loc	1 87 48                         ; fp8_utils_aot.py:87:48
	v_lshl_add_u64 v[0:1], v[4:5], 1, v[10:11]
	.loc	1 89 21                         ; fp8_utils_aot.py:89:21
	global_store_short v[0:1], v2, off
	s_or_b64 exec, exec, s[0:1]
	.loc	1 88 39                         ; fp8_utils_aot.py:88:39
	s_and_b64 s[2:3], s[6:7], s[8:9]
	.loc	1 89 21                         ; fp8_utils_aot.py:89:21
	s_and_saveexec_b64 s[0:1], s[2:3]
	s_cbranch_execz .LBB0_294
.LBB0_310:
	.loc	1 79 27                         ; fp8_utils_aot.py:79:27
	v_bfe_u32 v0, v223, 16, 1
	s_movk_i32 s2, 0x7fff
	v_add3_u32 v0, v223, v0, s2
	v_cmp_o_f32_e32 vcc, v223, v223
	v_mov_b32_e32 v1, 0x7fff
	s_nop 0
	v_cndmask_b32_sdwa v2, v1, v0, vcc dst_sel:DWORD dst_unused:UNUSED_PAD src0_sel:DWORD src1_sel:WORD_1
	.loc	1 87 48                         ; fp8_utils_aot.py:87:48
	v_lshl_add_u64 v[0:1], v[6:7], 1, v[10:11]
	.loc	1 89 21                         ; fp8_utils_aot.py:89:21
	global_store_short v[0:1], v2, off
	s_or_b64 exec, exec, s[0:1]
	.loc	1 88 39                         ; fp8_utils_aot.py:88:39
	s_and_b64 s[2:3], s[6:7], s[10:11]
	.loc	1 89 21                         ; fp8_utils_aot.py:89:21
	s_and_saveexec_b64 s[0:1], s[2:3]
	s_cbranch_execz .LBB0_295
.LBB0_311:
	.loc	1 79 27                         ; fp8_utils_aot.py:79:27
	v_bfe_u32 v0, v208, 16, 1
	s_movk_i32 s2, 0x7fff
	v_add3_u32 v0, v208, v0, s2
	v_cmp_o_f32_e32 vcc, v208, v208
	v_mov_b32_e32 v1, 0x7fff
	s_nop 0
	v_cndmask_b32_sdwa v2, v1, v0, vcc dst_sel:DWORD dst_unused:UNUSED_PAD src0_sel:DWORD src1_sel:WORD_1
	.loc	1 87 48                         ; fp8_utils_aot.py:87:48
	v_lshl_add_u64 v[0:1], v[8:9], 1, v[10:11]
	.loc	1 89 21                         ; fp8_utils_aot.py:89:21
	global_store_short v[0:1], v2, off
	s_or_b64 exec, exec, s[0:1]
	.loc	1 88 39                         ; fp8_utils_aot.py:88:39
	s_and_b64 s[2:3], s[6:7], s[14:15]
	.loc	1 89 21                         ; fp8_utils_aot.py:89:21
	s_and_saveexec_b64 s[0:1], s[2:3]
	s_cbranch_execz .LBB0_296
.LBB0_312:
	.loc	1 79 27                         ; fp8_utils_aot.py:79:27
	v_bfe_u32 v0, v209, 16, 1
	s_movk_i32 s2, 0x7fff
	v_add3_u32 v0, v209, v0, s2
	v_cmp_o_f32_e32 vcc, v209, v209
	v_mov_b32_e32 v1, 0x7fff
	s_nop 0
	v_cndmask_b32_sdwa v2, v1, v0, vcc dst_sel:DWORD dst_unused:UNUSED_PAD src0_sel:DWORD src1_sel:WORD_1
	.loc	1 87 48                         ; fp8_utils_aot.py:87:48
	v_lshl_add_u64 v[0:1], v[12:13], 1, v[10:11]
	.loc	1 89 21                         ; fp8_utils_aot.py:89:21
	global_store_short v[0:1], v2, off
	s_or_b64 exec, exec, s[0:1]
	.loc	1 88 39                         ; fp8_utils_aot.py:88:39
	s_and_b64 s[2:3], s[6:7], s[16:17]
	.loc	1 89 21                         ; fp8_utils_aot.py:89:21
	s_and_saveexec_b64 s[0:1], s[2:3]
	s_cbranch_execz .LBB0_297
.LBB0_313:
	.loc	1 79 27                         ; fp8_utils_aot.py:79:27
	v_bfe_u32 v0, v204, 16, 1
	s_movk_i32 s2, 0x7fff
	v_add3_u32 v0, v204, v0, s2
	v_cmp_o_f32_e32 vcc, v204, v204
	v_mov_b32_e32 v1, 0x7fff
	s_nop 0
	v_cndmask_b32_sdwa v2, v1, v0, vcc dst_sel:DWORD dst_unused:UNUSED_PAD src0_sel:DWORD src1_sel:WORD_1
	.loc	1 87 48                         ; fp8_utils_aot.py:87:48
	v_lshl_add_u64 v[0:1], v[14:15], 1, v[10:11]
	.loc	1 89 21                         ; fp8_utils_aot.py:89:21
	global_store_short v[0:1], v2, off
	s_or_b64 exec, exec, s[0:1]
	.loc	1 88 39                         ; fp8_utils_aot.py:88:39
	s_and_b64 s[2:3], s[6:7], s[18:19]
	.loc	1 89 21                         ; fp8_utils_aot.py:89:21
	s_and_saveexec_b64 s[0:1], s[2:3]
	s_cbranch_execz .LBB0_298
.LBB0_314:
	.loc	1 79 27                         ; fp8_utils_aot.py:79:27
	v_bfe_u32 v0, v205, 16, 1
	s_movk_i32 s2, 0x7fff
	v_add3_u32 v0, v205, v0, s2
	v_cmp_o_f32_e32 vcc, v205, v205
	v_mov_b32_e32 v1, 0x7fff
	s_nop 0
	v_cndmask_b32_sdwa v2, v1, v0, vcc dst_sel:DWORD dst_unused:UNUSED_PAD src0_sel:DWORD src1_sel:WORD_1
	.loc	1 87 48                         ; fp8_utils_aot.py:87:48
	v_lshl_add_u64 v[0:1], v[16:17], 1, v[10:11]
	.loc	1 89 21                         ; fp8_utils_aot.py:89:21
	global_store_short v[0:1], v2, off
	s_or_b64 exec, exec, s[0:1]
	.loc	1 88 39                         ; fp8_utils_aot.py:88:39
	s_and_b64 s[2:3], s[6:7], s[20:21]
	.loc	1 89 21                         ; fp8_utils_aot.py:89:21
	s_and_saveexec_b64 s[0:1], s[2:3]
	s_cbranch_execz .LBB0_299
.LBB0_315:
	.loc	1 79 27                         ; fp8_utils_aot.py:79:27
	v_bfe_u32 v0, v202, 16, 1
	s_movk_i32 s2, 0x7fff
	v_add3_u32 v0, v202, v0, s2
	v_cmp_o_f32_e32 vcc, v202, v202
	v_mov_b32_e32 v1, 0x7fff
	s_nop 0
	v_cndmask_b32_sdwa v2, v1, v0, vcc dst_sel:DWORD dst_unused:UNUSED_PAD src0_sel:DWORD src1_sel:WORD_1
	.loc	1 87 48                         ; fp8_utils_aot.py:87:48
	v_lshl_add_u64 v[0:1], v[18:19], 1, v[10:11]
	.loc	1 89 21                         ; fp8_utils_aot.py:89:21
	global_store_short v[0:1], v2, off
	s_or_b64 exec, exec, s[0:1]
	.loc	1 88 39                         ; fp8_utils_aot.py:88:39
	s_and_b64 s[2:3], s[6:7], s[22:23]
	.loc	1 89 21                         ; fp8_utils_aot.py:89:21
	s_and_saveexec_b64 s[0:1], s[2:3]
	s_cbranch_execz .LBB0_300
.LBB0_316:
	.loc	1 79 27                         ; fp8_utils_aot.py:79:27
	v_bfe_u32 v0, v203, 16, 1
	s_movk_i32 s2, 0x7fff
	v_add3_u32 v0, v203, v0, s2
	v_cmp_o_f32_e32 vcc, v203, v203
	v_mov_b32_e32 v1, 0x7fff
	s_nop 0
	v_cndmask_b32_sdwa v2, v1, v0, vcc dst_sel:DWORD dst_unused:UNUSED_PAD src0_sel:DWORD src1_sel:WORD_1
	.loc	1 87 48                         ; fp8_utils_aot.py:87:48
	v_lshl_add_u64 v[0:1], v[20:21], 1, v[10:11]
	.loc	1 89 21                         ; fp8_utils_aot.py:89:21
	global_store_short v[0:1], v2, off
	s_or_b64 exec, exec, s[0:1]
	.loc	1 88 39                         ; fp8_utils_aot.py:88:39
	s_and_b64 s[2:3], s[6:7], s[24:25]
	.loc	1 89 21                         ; fp8_utils_aot.py:89:21
	s_and_saveexec_b64 s[0:1], s[2:3]
	s_cbranch_execz .LBB0_301
.LBB0_317:
	.loc	1 79 27                         ; fp8_utils_aot.py:79:27
	v_bfe_u32 v0, v200, 16, 1
	s_movk_i32 s2, 0x7fff
	v_add3_u32 v0, v200, v0, s2
	v_cmp_o_f32_e32 vcc, v200, v200
	v_mov_b32_e32 v1, 0x7fff
	s_nop 0
	v_cndmask_b32_sdwa v2, v1, v0, vcc dst_sel:DWORD dst_unused:UNUSED_PAD src0_sel:DWORD src1_sel:WORD_1
	.loc	1 87 48                         ; fp8_utils_aot.py:87:48
	v_lshl_add_u64 v[0:1], v[22:23], 1, v[10:11]
	.loc	1 89 21                         ; fp8_utils_aot.py:89:21
	global_store_short v[0:1], v2, off
	s_or_b64 exec, exec, s[0:1]
	.loc	1 88 39                         ; fp8_utils_aot.py:88:39
	s_and_b64 s[2:3], s[6:7], s[26:27]
	.loc	1 89 21                         ; fp8_utils_aot.py:89:21
	s_and_saveexec_b64 s[0:1], s[2:3]
	s_cbranch_execz .LBB0_302
.LBB0_318:
	.loc	1 79 27                         ; fp8_utils_aot.py:79:27
	v_bfe_u32 v0, v201, 16, 1
	s_movk_i32 s2, 0x7fff
	v_add3_u32 v0, v201, v0, s2
	v_cmp_o_f32_e32 vcc, v201, v201
	v_mov_b32_e32 v1, 0x7fff
	s_nop 0
	v_cndmask_b32_sdwa v2, v1, v0, vcc dst_sel:DWORD dst_unused:UNUSED_PAD src0_sel:DWORD src1_sel:WORD_1
	.loc	1 87 48                         ; fp8_utils_aot.py:87:48
	v_lshl_add_u64 v[0:1], v[24:25], 1, v[10:11]
	.loc	1 89 21                         ; fp8_utils_aot.py:89:21
	global_store_short v[0:1], v2, off
	s_or_b64 exec, exec, s[0:1]
	.loc	1 88 39                         ; fp8_utils_aot.py:88:39
	s_and_b64 s[2:3], s[6:7], s[28:29]
	.loc	1 89 21                         ; fp8_utils_aot.py:89:21
	s_and_saveexec_b64 s[0:1], s[2:3]
	s_cbranch_execz .LBB0_303
.LBB0_319:
	.loc	1 79 27                         ; fp8_utils_aot.py:79:27
	v_bfe_u32 v0, v198, 16, 1
	s_movk_i32 s2, 0x7fff
	v_add3_u32 v0, v198, v0, s2
	v_cmp_o_f32_e32 vcc, v198, v198
	v_mov_b32_e32 v1, 0x7fff
	s_nop 0
	v_cndmask_b32_sdwa v2, v1, v0, vcc dst_sel:DWORD dst_unused:UNUSED_PAD src0_sel:DWORD src1_sel:WORD_1
	.loc	1 87 48                         ; fp8_utils_aot.py:87:48
	v_lshl_add_u64 v[0:1], v[26:27], 1, v[10:11]
	.loc	1 89 21                         ; fp8_utils_aot.py:89:21
	global_store_short v[0:1], v2, off
	s_or_b64 exec, exec, s[0:1]
	.loc	1 88 39                         ; fp8_utils_aot.py:88:39
	s_and_b64 s[2:3], s[6:7], s[30:31]
	.loc	1 89 21                         ; fp8_utils_aot.py:89:21
	s_and_saveexec_b64 s[0:1], s[2:3]
	s_cbranch_execz .LBB0_304
.LBB0_320:
	.loc	1 79 27                         ; fp8_utils_aot.py:79:27
	v_bfe_u32 v0, v199, 16, 1
	s_movk_i32 s2, 0x7fff
	v_add3_u32 v0, v199, v0, s2
	v_cmp_o_f32_e32 vcc, v199, v199
	v_mov_b32_e32 v1, 0x7fff
	s_nop 0
	v_cndmask_b32_sdwa v2, v1, v0, vcc dst_sel:DWORD dst_unused:UNUSED_PAD src0_sel:DWORD src1_sel:WORD_1
	.loc	1 87 48                         ; fp8_utils_aot.py:87:48
	v_lshl_add_u64 v[0:1], v[28:29], 1, v[10:11]
	.loc	1 89 21                         ; fp8_utils_aot.py:89:21
	global_store_short v[0:1], v2, off
	s_or_b64 exec, exec, s[0:1]
	.loc	1 88 39                         ; fp8_utils_aot.py:88:39
	s_and_b64 s[2:3], s[6:7], s[34:35]
	.loc	1 89 21                         ; fp8_utils_aot.py:89:21
	s_and_saveexec_b64 s[0:1], s[2:3]
	s_cbranch_execz .LBB0_305
.LBB0_321:
	.loc	1 79 27                         ; fp8_utils_aot.py:79:27
	v_bfe_u32 v0, v196, 16, 1
	s_movk_i32 s2, 0x7fff
	v_add3_u32 v0, v196, v0, s2
	v_cmp_o_f32_e32 vcc, v196, v196
	v_mov_b32_e32 v1, 0x7fff
	s_nop 0
	v_cndmask_b32_sdwa v2, v1, v0, vcc dst_sel:DWORD dst_unused:UNUSED_PAD src0_sel:DWORD src1_sel:WORD_1
	.loc	1 87 48                         ; fp8_utils_aot.py:87:48
	v_lshl_add_u64 v[0:1], v[30:31], 1, v[10:11]
	.loc	1 89 21                         ; fp8_utils_aot.py:89:21
	global_store_short v[0:1], v2, off
	s_or_b64 exec, exec, s[0:1]
	.loc	1 88 39                         ; fp8_utils_aot.py:88:39
	s_and_b64 s[0:1], s[6:7], s[36:37]
	.loc	1 89 21                         ; fp8_utils_aot.py:89:21
	s_and_saveexec_b64 s[2:3], s[0:1]
	s_cbranch_execz .LBB0_306
.LBB0_322:
	.loc	1 79 27                         ; fp8_utils_aot.py:79:27
	v_bfe_u32 v0, v197, 16, 1
	s_movk_i32 s0, 0x7fff
	v_add3_u32 v0, v197, v0, s0
	v_cmp_o_f32_e32 vcc, v197, v197
	v_mov_b32_e32 v1, 0x7fff
	s_nop 0
	v_cndmask_b32_sdwa v2, v1, v0, vcc dst_sel:DWORD dst_unused:UNUSED_PAD src0_sel:DWORD src1_sel:WORD_1
	.loc	1 87 48                         ; fp8_utils_aot.py:87:48
	v_lshl_add_u64 v[0:1], v[32:33], 1, v[10:11]
	.loc	1 89 21                         ; fp8_utils_aot.py:89:21
	global_store_short v[0:1], v2, off
	.loc	1 89 4 is_stmt 0                ; fp8_utils_aot.py:89:4
	s_endpgm
.Ltmp19:
	.section	.rodata,"a",@progbits
	.p2align	6, 0x0
	.amdhsa_kernel _w8a8_triton_block_scaled_mm
		.amdhsa_group_segment_fixed_size 0
		.amdhsa_private_segment_fixed_size 0
		.amdhsa_kernarg_size 120
		.amdhsa_user_sgpr_count 16
		.amdhsa_user_sgpr_dispatch_ptr 0
		.amdhsa_user_sgpr_queue_ptr 0
		.amdhsa_user_sgpr_kernarg_segment_ptr 1
		.amdhsa_user_sgpr_dispatch_id 0
		.amdhsa_user_sgpr_kernarg_preload_length 14
		.amdhsa_user_sgpr_kernarg_preload_offset 0
		.amdhsa_user_sgpr_private_segment_size 0
		.amdhsa_uses_dynamic_stack 0
		.amdhsa_enable_private_segment 0
		.amdhsa_system_sgpr_workgroup_id_x 1
		.amdhsa_system_sgpr_workgroup_id_y 0
		.amdhsa_system_sgpr_workgroup_id_z 0
		.amdhsa_system_sgpr_workgroup_info 0
		.amdhsa_system_vgpr_workitem_id 0
		.amdhsa_next_free_vgpr 500
		.amdhsa_next_free_sgpr 100
		.amdhsa_accum_offset 256
		.amdhsa_reserve_vcc 1
		.amdhsa_reserve_xnack_mask 1
		.amdhsa_float_round_mode_32 0
		.amdhsa_float_round_mode_16_64 0
		.amdhsa_float_denorm_mode_32 3
		.amdhsa_float_denorm_mode_16_64 3
		.amdhsa_dx10_clamp 1
		.amdhsa_ieee_mode 1
		.amdhsa_fp16_overflow 0
		.amdhsa_tg_split 0
		.amdhsa_exception_fp_ieee_invalid_op 0
		.amdhsa_exception_fp_denorm_src 0
		.amdhsa_exception_fp_ieee_div_zero 0
		.amdhsa_exception_fp_ieee_overflow 0
		.amdhsa_exception_fp_ieee_underflow 0
		.amdhsa_exception_fp_ieee_inexact 0
		.amdhsa_exception_int_div_zero 0
	.end_amdhsa_kernel
	.text
.Lfunc_end0:
	.size	_w8a8_triton_block_scaled_mm, .Lfunc_end0-_w8a8_triton_block_scaled_mm
	.cfi_endproc
                                        ; -- End function
	.set _w8a8_triton_block_scaled_mm.num_vgpr, 256
	.set _w8a8_triton_block_scaled_mm.num_agpr, 244
	.set _w8a8_triton_block_scaled_mm.numbered_sgpr, 100
	.set _w8a8_triton_block_scaled_mm.num_named_barrier, 0
	.set _w8a8_triton_block_scaled_mm.private_seg_size, 0
	.set _w8a8_triton_block_scaled_mm.uses_vcc, 1
	.set _w8a8_triton_block_scaled_mm.uses_flat_scratch, 0
	.set _w8a8_triton_block_scaled_mm.has_dyn_sized_stack, 0
	.set _w8a8_triton_block_scaled_mm.has_recursion, 0
	.set _w8a8_triton_block_scaled_mm.has_indirect_call, 0
	.section	.AMDGPU.csdata,"",@progbits
; Kernel info:
; codeLenInByte = 59428
; TotalNumSgprs: 106
; NumVgprs: 256
; NumAgprs: 244
; TotalNumVgprs: 500
; ScratchSize: 0
; MemoryBound: 0
; FloatMode: 240
; IeeeMode: 1
; LDSByteSize: 0 bytes/workgroup (compile time only)
; SGPRBlocks: 13
; VGPRBlocks: 62
; NumSGPRsForWavesPerEU: 106
; NumVGPRsForWavesPerEU: 500
; AccumOffset: 256
; Occupancy: 1
; WaveLimiterHint : 0
; COMPUTE_PGM_RSRC2:SCRATCH_EN: 0
; COMPUTE_PGM_RSRC2:USER_SGPR: 16
; COMPUTE_PGM_RSRC2:TRAP_HANDLER: 0
; COMPUTE_PGM_RSRC2:TGID_X_EN: 1
; COMPUTE_PGM_RSRC2:TGID_Y_EN: 0
; COMPUTE_PGM_RSRC2:TGID_Z_EN: 0
; COMPUTE_PGM_RSRC2:TIDIG_COMP_CNT: 0
; COMPUTE_PGM_RSRC3_GFX90A:ACCUM_OFFSET: 63
; COMPUTE_PGM_RSRC3_GFX90A:TG_SPLIT: 0
	.text
	.p2alignl 6, 3212836864
	.fill 256, 4, 3212836864
	.section	.AMDGPU.gpr_maximums,"",@progbits
	.set amdgpu.max_num_vgpr, 0
	.set amdgpu.max_num_agpr, 0
	.set amdgpu.max_num_sgpr, 0
	.set amdgpu.max_num_named_barrier, 0
	.text
	.section	.debug_abbrev,"",@progbits
	.byte	1                               ; Abbreviation Code
	.byte	17                              ; DW_TAG_compile_unit
	.byte	1                               ; DW_CHILDREN_yes
	.byte	37                              ; DW_AT_producer
	.byte	14                              ; DW_FORM_strp
	.byte	19                              ; DW_AT_language
	.byte	5                               ; DW_FORM_data2
	.byte	3                               ; DW_AT_name
	.byte	14                              ; DW_FORM_strp
	.byte	16                              ; DW_AT_stmt_list
	.byte	23                              ; DW_FORM_sec_offset
	.byte	27                              ; DW_AT_comp_dir
	.byte	14                              ; DW_FORM_strp
	.byte	17                              ; DW_AT_low_pc
	.byte	1                               ; DW_FORM_addr
	.byte	18                              ; DW_AT_high_pc
	.byte	6                               ; DW_FORM_data4
	.byte	0                               ; EOM(1)
	.byte	0                               ; EOM(2)
	.byte	2                               ; Abbreviation Code
	.byte	46                              ; DW_TAG_subprogram
	.byte	0                               ; DW_CHILDREN_no
	.byte	3                               ; DW_AT_name
	.byte	14                              ; DW_FORM_strp
	.byte	32                              ; DW_AT_inline
	.byte	11                              ; DW_FORM_data1
	.byte	0                               ; EOM(1)
	.byte	0                               ; EOM(2)
	.byte	3                               ; Abbreviation Code
	.byte	46                              ; DW_TAG_subprogram
	.byte	1                               ; DW_CHILDREN_yes
	.byte	17                              ; DW_AT_low_pc
	.byte	1                               ; DW_FORM_addr
	.byte	18                              ; DW_AT_high_pc
	.byte	6                               ; DW_FORM_data4
	.byte	49                              ; DW_AT_abstract_origin
	.byte	19                              ; DW_FORM_ref4
	.byte	0                               ; EOM(1)
	.byte	0                               ; EOM(2)
	.byte	4                               ; Abbreviation Code
	.byte	29                              ; DW_TAG_inlined_subroutine
	.byte	0                               ; DW_CHILDREN_no
	.byte	49                              ; DW_AT_abstract_origin
	.byte	19                              ; DW_FORM_ref4
	.byte	85                              ; DW_AT_ranges
	.byte	23                              ; DW_FORM_sec_offset
	.byte	88                              ; DW_AT_call_file
	.byte	11                              ; DW_FORM_data1
	.byte	89                              ; DW_AT_call_line
	.byte	11                              ; DW_FORM_data1
	.byte	87                              ; DW_AT_call_column
	.byte	11                              ; DW_FORM_data1
	.byte	0                               ; EOM(1)
	.byte	0                               ; EOM(2)
	.byte	5                               ; Abbreviation Code
	.byte	29                              ; DW_TAG_inlined_subroutine
	.byte	0                               ; DW_CHILDREN_no
	.byte	49                              ; DW_AT_abstract_origin
	.byte	19                              ; DW_FORM_ref4
	.byte	17                              ; DW_AT_low_pc
	.byte	1                               ; DW_FORM_addr
	.byte	18                              ; DW_AT_high_pc
	.byte	6                               ; DW_FORM_data4
	.byte	88                              ; DW_AT_call_file
	.byte	11                              ; DW_FORM_data1
	.byte	89                              ; DW_AT_call_line
	.byte	11                              ; DW_FORM_data1
	.byte	87                              ; DW_AT_call_column
	.byte	11                              ; DW_FORM_data1
	.byte	0                               ; EOM(1)
	.byte	0                               ; EOM(2)
	;; [unrolled: 1-line block ×3, first 2 shown]
	.section	.debug_info,"",@progbits
.Lcu_begin0:
	.long	.Ldebug_info_end0-.Ldebug_info_start0 ; Length of Unit
.Ldebug_info_start0:
	.short	4                               ; DWARF version number
	.long	.debug_abbrev                   ; Offset Into Abbrev. Section
	.byte	8                               ; Address Size (in bytes)
	.byte	1                               ; Abbrev [1] 0xb:0x64 DW_TAG_compile_unit
	.long	.Linfo_string0                  ; DW_AT_producer
	.short	2                               ; DW_AT_language
	.long	.Linfo_string1                  ; DW_AT_name
	.long	.Lline_table_start0             ; DW_AT_stmt_list
	.long	.Linfo_string2                  ; DW_AT_comp_dir
	.quad	.Lfunc_begin0                   ; DW_AT_low_pc
	.long	.Lfunc_end0-.Lfunc_begin0       ; DW_AT_high_pc
	.byte	2                               ; Abbrev [2] 0x2a:0x6 DW_TAG_subprogram
	.long	.Linfo_string3                  ; DW_AT_name
	.byte	1                               ; DW_AT_inline
	.byte	3                               ; Abbrev [3] 0x30:0x3e DW_TAG_subprogram
	.quad	.Lfunc_begin0                   ; DW_AT_low_pc
	.long	.Lfunc_end0-.Lfunc_begin0       ; DW_AT_high_pc
	.long	42                              ; DW_AT_abstract_origin
	.byte	4                               ; Abbrev [4] 0x41:0xc DW_TAG_inlined_subroutine
	.long	42                              ; DW_AT_abstract_origin
	.long	.Ldebug_ranges0                 ; DW_AT_ranges
	.byte	1                               ; DW_AT_call_file
	.byte	45                              ; DW_AT_call_line
	.byte	27                              ; DW_AT_call_column
	.byte	5                               ; Abbrev [5] 0x4d:0x14 DW_TAG_inlined_subroutine
	.long	42                              ; DW_AT_abstract_origin
	.quad	.Ltmp3                          ; DW_AT_low_pc
	.long	.Ltmp4-.Ltmp3                   ; DW_AT_high_pc
	.byte	1                               ; DW_AT_call_file
	.byte	46                              ; DW_AT_call_line
	.byte	27                              ; DW_AT_call_column
	.byte	4                               ; Abbrev [4] 0x61:0xc DW_TAG_inlined_subroutine
	.long	42                              ; DW_AT_abstract_origin
	.long	.Ldebug_ranges1                 ; DW_AT_ranges
	.byte	1                               ; DW_AT_call_file
	.byte	65                              ; DW_AT_call_line
	.byte	33                              ; DW_AT_call_column
	.byte	0                               ; End Of Children Mark
	.byte	0                               ; End Of Children Mark
.Ldebug_info_end0:
	.section	.debug_ranges,"",@progbits
.Ldebug_ranges0:
	.quad	.Ltmp1-.Lfunc_begin0
	.quad	.Ltmp2-.Lfunc_begin0
	;; [unrolled: 1-line block ×8, first 2 shown]
	.quad	0
	.quad	0
.Ldebug_ranges1:
	.quad	.Ltmp11-.Lfunc_begin0
	.quad	.Ltmp12-.Lfunc_begin0
	;; [unrolled: 1-line block ×8, first 2 shown]
	.quad	0
	.quad	0
	.section	.debug_str,"MS",@progbits,1
.Linfo_string0:
	.asciz	"triton"                        ; string offset=0
.Linfo_string1:
	.asciz	"fp8_utils_aot.py"              ; string offset=7
.Linfo_string2:
	.asciz	"/root/src/amdgpu-assembly/repos/vllm-project__vllm/triton_aot_kernels" ; string offset=24
.Linfo_string3:
	.asciz	"_w8a8_triton_block_scaled_mm"  ; string offset=94
	.section	".note.GNU-stack","",@progbits
	.amdgpu_metadata
---
amdhsa.kernels:
  - .agpr_count:     244
    .args:
      - .address_space:  global
        .offset:         0
        .size:           8
        .value_kind:     global_buffer
      - .address_space:  global
        .offset:         8
        .size:           8
        .value_kind:     global_buffer
      - .address_space:  global
        .offset:         16
        .size:           8
        .value_kind:     global_buffer
      - .address_space:  global
        .offset:         24
        .size:           8
        .value_kind:     global_buffer
      - .address_space:  global
        .offset:         32
        .size:           8
        .value_kind:     global_buffer
      - .offset:         40
        .size:           4
        .value_kind:     by_value
      - .offset:         44
        .size:           4
        .value_kind:     by_value
      - .offset:         48
        .size:           4
        .value_kind:     by_value
      - .offset:         52
        .size:           4
        .value_kind:     by_value
      - .offset:         56
        .size:           4
        .value_kind:     by_value
      - .offset:         60
        .size:           4
        .value_kind:     by_value
      - .offset:         64
        .size:           4
        .value_kind:     by_value
      - .offset:         68
        .size:           4
        .value_kind:     by_value
      - .offset:         72
        .size:           4
        .value_kind:     by_value
      - .offset:         76
        .size:           4
        .value_kind:     by_value
      - .offset:         80
        .size:           4
        .value_kind:     by_value
      - .offset:         84
        .size:           4
        .value_kind:     by_value
      - .offset:         88
        .size:           4
        .value_kind:     by_value
      - .offset:         92
        .size:           4
        .value_kind:     by_value
      - .offset:         96
        .size:           4
        .value_kind:     by_value
      - .address_space:  global
        .offset:         104
        .size:           8
        .value_kind:     global_buffer
      - .address_space:  global
        .offset:         112
        .size:           8
        .value_kind:     global_buffer
    .group_segment_fixed_size: 0
    .kernarg_segment_align: 8
    .kernarg_segment_size: 120
    .max_flat_workgroup_size: 256
    .name:           _w8a8_triton_block_scaled_mm
    .private_segment_fixed_size: 0
    .sgpr_count:     106
    .sgpr_spill_count: 79
    .symbol:         _w8a8_triton_block_scaled_mm.kd
    .uniform_work_group_size: 1
    .uses_dynamic_stack: false
    .vgpr_count:     500
    .vgpr_spill_count: 0
    .wavefront_size: 64
amdhsa.target:   amdgcn-amd-amdhsa--gfx942
amdhsa.version:
  - 1
  - 2
...

	.end_amdgpu_metadata
	.section	.debug_line,"",@progbits
.Lline_table_start0:
